;; amdgpu-corpus repo=ROCm/aiter kind=harvested arch=n/a opt=n/a

/root/src/amdgpu-assembly/repos/ROCm__aiter/hsa/gfx950/bf16gemm/bf16gemm_fp32bf16_tn_64x64_splitk_clean.co:	file format elf64-amdgpu

Disassembly of section .text:

0000000000002a00 <_ZN5aiter39bf16gemm_fp32bf16_tn_64x64_splitk_cleanE>:
	s_mov_b32 s53, s4                                          // 000000002A00: BEB50004
	s_and_b32 s1, s1, 0xffff                                   // 000000002A04: 8601FF01 0000FFFF
	s_load_dword s25, s[0:1], 0xe0                             // 000000002A0C: C0020640 000000E0
	s_load_dword s26, s[0:1], 0xf0                             // 000000002A14: C0020680 000000F0
	s_load_dword s27, s[0:1], 0x100                            // 000000002A1C: C00206C0 00000100
	s_load_dword s28, s[0:1], 0xa0                             // 000000002A24: C0020700 000000A0
	s_load_dword s29, s[0:1], 0xc0                             // 000000002A2C: C0020740 000000C0
	s_load_dword s30, s[0:1], 0x80                             // 000000002A34: C0020780 00000080
	s_load_dword s20, s[0:1], 0x40                             // 000000002A3C: C0020500 00000040
	s_load_dword s21, s[0:1], 0x50                             // 000000002A44: C0020540 00000050
	s_load_dwordx2 s[4:5], s[0:1], 0x20                        // 000000002A4C: C0060100 00000020
	s_load_dwordx2 s[8:9], s[0:1], 0x30                        // 000000002A54: C0060200 00000030
	s_load_dwordx2 s[12:13], s[0:1], 0x10                      // 000000002A5C: C0060300 00000010
	s_load_dwordx2 s[16:17], s[0:1], 0x0                       // 000000002A64: C0060400 00000000
	s_load_dword s52, s[0:1], 0x110                            // 000000002A6C: C0020D00 00000110
	s_load_dword s54, s[0:1], 0x120                            // 000000002A74: C0020D80 00000120
	s_load_dwordx2 s[36:37], s[0:1], 0x130                     // 000000002A7C: C0060900 00000130
	s_load_dword s61, s[0:1], 0x140                            // 000000002A84: C0020F40 00000140
	s_load_dwordx2 s[40:41], s[0:1], 0x150                     // 000000002A8C: C0060A00 00000150
	v_lshrrev_b32_e32 v1, 10, v0                               // 000000002A94: 2002008A
	v_lshrrev_b32_e32 v2, 10, v1                               // 000000002A98: 2004028A
	v_and_b32_e32 v2, 0x3ff, v2                                // 000000002A9C: 260404FF 000003FF
	v_and_b32_e32 v1, 0x3ff, v1                                // 000000002AA4: 260202FF 000003FF
	v_and_b32_e32 v0, 0x3ff, v0                                // 000000002AAC: 260000FF 000003FF
	v_lshrrev_b32_e32 v3, 6, v0                                // 000000002AB4: 20060086
	v_and_b32_e32 v0, 63, v0                                   // 000000002AB8: 260000BF
	s_mov_b32 s22, s2                                          // 000000002ABC: BE960002
	s_mov_b32 s23, s3                                          // 000000002AC0: BE970003
	v_readfirstlane_b32 s24, v3                                // 000000002AC4: 7E300503
	s_waitcnt lgkmcnt(0)                                       // 000000002AC8: BF8CC07F
	s_mov_b32 s18, -16                                         // 000000002ACC: BE9200D0
	s_mov_b32 s14, -16                                         // 000000002AD0: BE8E00D0
	s_mov_b32 s10, -16                                         // 000000002AD4: BE8A00D0
	s_mov_b32 s6, -16                                          // 000000002AD8: BE8600D0
	s_mov_b32 s38, -16                                         // 000000002ADC: BEA600D0
	s_mov_b32 s19, 0x20000                                     // 000000002AE0: BE9300FF 00020000
	s_mov_b32 s15, 0x20000                                     // 000000002AE8: BE8F00FF 00020000
	s_mov_b32 s11, 0x20000                                     // 000000002AF0: BE8B00FF 00020000
	s_mov_b32 s7, 0x20000                                      // 000000002AF8: BE8700FF 00020000
	s_mov_b32 s39, 0x20000                                     // 000000002B00: BEA700FF 00020000
	s_and_b32 s17, s17, 0xffff                                 // 000000002B08: 8611FF11 0000FFFF
	s_and_b32 s13, s13, 0xffff                                 // 000000002B10: 860DFF0D 0000FFFF
	s_and_b32 s9, s9, 0xffff                                   // 000000002B18: 8609FF09 0000FFFF
	s_and_b32 s5, s5, 0xffff                                   // 000000002B20: 8605FF05 0000FFFF
	s_and_b32 s37, s37, 0xffff                                 // 000000002B28: 8625FF25 0000FFFF
	s_or_b32 s17, s17, 0x40000                                 // 000000002B30: 8711FF11 00040000
	s_or_b32 s13, s13, 0x40000                                 // 000000002B38: 870DFF0D 00040000
	s_or_b32 s9, s9, 0x40000                                   // 000000002B40: 8709FF09 00040000
	s_or_b32 s5, s5, 0x40000                                   // 000000002B48: 8705FF05 00040000
	s_or_b32 s37, s37, 0x40000                                 // 000000002B50: 8725FF25 00040000
	s_add_u32 s31, s26, 63                                     // 000000002B58: 801FBF1A
	s_lshr_b32 s31, s31, 6                                     // 000000002B5C: 8F1F861F
	s_mul_i32 s62, s23, s31                                    // 000000002B60: 923E1F17
	s_add_u32 s62, s62, s22                                    // 000000002B64: 803E163E
	s_lshl_b32 s62, s62, 2                                     // 000000002B68: 8E3E823E
	s_cmp_eq_u32 s53, 0                                        // 000000002B6C: BF068035
	s_cbranch_scc0 label_005F                                  // 000000002B70: BF840002
	s_load_dword s63, s[40:41], s62 glc                        // 000000002B74: C0010FD4 0000003E

0000000000002b7c <label_005F>:
	s_mov_b32 s35, 0x7060302                                   // 000000002B7C: BEA300FF 07060302
	v_mov_b32_e32 v9, 0xffff0000                               // 000000002B84: 7E1202FF FFFF0000
	v_mov_b32_e32 v10, 0x7fff0000                              // 000000002B8C: 7E1402FF 7FFF0000
	v_mov_b32_e32 v11, 0x7fff                                  // 000000002B94: 7E1602FF 00007FFF
	s_mul_i32 s31, s30, s25                                    // 000000002B9C: 921F191E
	s_mov_b32 s18, s31                                         // 000000002BA0: BE92001F
	s_cmp_lt_u32 s54, 1                                        // 000000002BA4: BF0A8136
	s_cbranch_scc0 label_0087                                  // 000000002BA8: BF84001C
	v_and_b32_e64 v12, v0, 15                                  // 000000002BAC: D113000C 00011F00
	v_mul_lo_u32 v12, v12, s30                                 // 000000002BB4: D285000C 00003D0C
	v_lshrrev_b32_e32 v4, 4, v0                                // 000000002BBC: 20080084
	v_mul_i32_i24_e32 v4, 16, v4                               // 000000002BC0: 0C080890
	v_add_u32_e32 v12, v4, v12                                 // 000000002BC4: 68181904
	s_mul_i32 s31, s23, 64                                     // 000000002BC8: 921FC017
	s_mul_i32 s31, s31, s30                                    // 000000002BCC: 921F1E1F
	v_add_u32_e32 v12, s31, v12                                // 000000002BD0: 6818181F
	s_mul_i32 s31, s22, 64                                     // 000000002BD4: 921FC016
	s_mul_i32 s31, s31, 4                                      // 000000002BD8: 921F841F
	v_add_u32_e32 v12, s31, v12                                // 000000002BDC: 6818181F
	s_mul_i32 s31, 64, s24                                     // 000000002BE0: 921F18C0
	v_add_u32_e32 v12, s31, v12                                // 000000002BE4: 6818181F
	s_mul_i32 s31, 16, s30                                     // 000000002BE8: 921F1E90
	v_add_u32_e32 v13, s31, v12                                // 000000002BEC: 681A181F
	v_add_u32_e32 v14, s31, v13                                // 000000002BF0: 681C1A1F
	v_add_u32_e32 v15, s31, v14                                // 000000002BF4: 681E1C1F
	s_mul_i32 s31, s23, 64                                     // 000000002BF8: 921FC017
	s_add_i32 s31, s31, s24                                    // 000000002BFC: 811F181F
	s_mul_i32 s31, s31, s30                                    // 000000002C00: 921F1E1F
	s_mul_i32 s32, s22, 64                                     // 000000002C04: 9220C016
	s_mul_i32 s32, s32, 4                                      // 000000002C08: 92208420
	s_add_i32 s31, s31, s32                                    // 000000002C0C: 811F201F
	v_lshlrev_b32_e32 v16, 2, v0                               // 000000002C10: 24200082
	v_add_u32_e32 v16, s31, v16                                // 000000002C14: 6820201F
	s_branch label_00A8                                        // 000000002C18: BF820021

0000000000002c1c <label_0087>:
	v_and_b32_e64 v12, v0, 15                                  // 000000002C1C: D113000C 00011F00
	v_mul_lo_u32 v12, v12, s30                                 // 000000002C24: D285000C 00003D0C
	v_lshrrev_b32_e32 v4, 4, v0                                // 000000002C2C: 20080084
	v_mul_i32_i24_e32 v4, 8, v4                                // 000000002C30: 0C080888
	v_add_u32_e32 v12, v4, v12                                 // 000000002C34: 68181904
	s_mul_i32 s31, s23, 64                                     // 000000002C38: 921FC017
	s_mul_i32 s31, s31, s30                                    // 000000002C3C: 921F1E1F
	v_add_u32_e32 v12, s31, v12                                // 000000002C40: 6818181F
	s_mul_i32 s31, s22, 64                                     // 000000002C44: 921FC016
	s_mul_i32 s31, s31, 2                                      // 000000002C48: 921F821F
	v_add_u32_e32 v12, s31, v12                                // 000000002C4C: 6818181F
	s_mul_i32 s31, 32, s24                                     // 000000002C50: 921F18A0
	v_add_u32_e32 v12, s31, v12                                // 000000002C54: 6818181F
	s_mul_i32 s31, 16, s30                                     // 000000002C58: 921F1E90
	v_add_u32_e32 v13, s31, v12                                // 000000002C5C: 681A181F
	v_add_u32_e32 v14, s31, v13                                // 000000002C60: 681C1A1F
	v_add_u32_e32 v15, s31, v14                                // 000000002C64: 681E1C1F
	s_mul_i32 s31, s23, 64                                     // 000000002C68: 921FC017
	s_add_i32 s31, s31, s24                                    // 000000002C6C: 811F181F
	s_mul_i32 s31, s31, s30                                    // 000000002C70: 921F1E1F
	s_mul_i32 s32, s22, 64                                     // 000000002C74: 9220C016
	s_mul_i32 s32, s32, 2                                      // 000000002C78: 92208220
	s_add_i32 s31, s31, s32                                    // 000000002C7C: 811F201F
	v_lshrrev_b32_e32 v4, 5, v0                                // 000000002C80: 20080085
	s_mul_i32 s32, s30, 4                                      // 000000002C84: 9220841E
	v_mul_lo_u32 v4, v4, s32                                   // 000000002C88: D2850004 00004104
	v_and_b32_e32 v5, 31, v0                                   // 000000002C90: 260A009F
	v_lshlrev_b32_e32 v5, 2, v5                                // 000000002C94: 240A0A82
	v_add_u32_e32 v16, v4, v5                                  // 000000002C98: 68200B04
	v_add_u32_e32 v16, s31, v16                                // 000000002C9C: 6820201F

0000000000002ca0 <label_00A8>:
	s_cmp_eq_u32 s53, 0                                        // 000000002CA0: BF068035
	s_cbranch_scc0 label_00C8                                  // 000000002CA4: BF84001E
	s_mov_b32 s31, 0                                           // 000000002CA8: BE9F0080

0000000000002cac <label_00AB>:
	s_waitcnt lgkmcnt(0)                                       // 000000002CAC: BF8CC07F
	s_cmp_eq_u32 s63, s31                                      // 000000002CB0: BF061F3F
	s_cbranch_scc1 label_00B1                                  // 000000002CB4: BF850003
	s_load_dword s63, s[40:41], s62 glc                        // 000000002CB8: C0010FD4 0000003E
	s_branch label_00AB                                        // 000000002CC0: BF82FFFA

0000000000002cc4 <label_00B1>:
	v_mov_b32_e32 v52, 0                                       // 000000002CC4: 7E680280
	v_mov_b32_e32 v53, 0                                       // 000000002CC8: 7E6A0280
	v_mov_b32_e32 v54, 0                                       // 000000002CCC: 7E6C0280
	v_mov_b32_e32 v55, 0                                       // 000000002CD0: 7E6E0280
	s_cmp_lt_u32 s54, 1                                        // 000000002CD4: BF0A8136
	s_cbranch_scc0 label_00C0                                  // 000000002CD8: BF840009
	buffer_store_dwordx4 v[52:55], v12, s[16:19], 0 offen sc0 nt sc1// 000000002CDC: E07ED000 8004340C
	buffer_store_dwordx4 v[52:55], v13, s[16:19], 0 offen sc0 nt sc1// 000000002CE4: E07ED000 8004340D
	buffer_store_dwordx4 v[52:55], v14, s[16:19], 0 offen sc0 nt sc1// 000000002CEC: E07ED000 8004340E
	buffer_store_dwordx4 v[52:55], v15, s[16:19], 0 offen sc0 nt sc1// 000000002CF4: E07ED000 8004340F
	s_branch label_00C8                                        // 000000002CFC: BF820008

0000000000002d00 <label_00C0>:
	buffer_store_dwordx2 v[52:53], v12, s[16:19], 0 offen sc0 nt sc1// 000000002D00: E076D000 8004340C
	buffer_store_dwordx2 v[52:53], v13, s[16:19], 0 offen sc0 nt sc1// 000000002D08: E076D000 8004340D
	buffer_store_dwordx2 v[52:53], v14, s[16:19], 0 offen sc0 nt sc1// 000000002D10: E076D000 8004340E
	buffer_store_dwordx2 v[52:53], v15, s[16:19], 0 offen sc0 nt sc1// 000000002D18: E076D000 8004340F

0000000000002d20 <label_00C8>:
	s_mul_i32 s31, s28, s25                                    // 000000002D20: 921F191C
	s_mov_b32 s6, s31                                          // 000000002D24: BE86001F
	s_mov_b32 s44, 0x80                                        // 000000002D28: BEAC00FF 00000080
	v_lshrrev_b32_e32 v4, 5, v0                                // 000000002D30: 20080085
	v_lshlrev_b32_e32 v4, 2, v4                                // 000000002D34: 24080882
	v_mul_lo_u32 v17, v4, s28                                  // 000000002D38: D2850011 00003904
	v_and_b32_e32 v4, 31, v0                                   // 000000002D40: 2608009F
	v_lshlrev_b32_e32 v4, 2, v4                                // 000000002D44: 24080882
	v_add_u32_e32 v17, v17, v4                                 // 000000002D48: 68220911
	s_mul_i32 s31, 8, s28                                      // 000000002D4C: 921F1C88
	v_add_u32_e64 v18, v17, s31                                // 000000002D50: D1340012 00003F11
	v_add_u32_e64 v19, v18, s31                                // 000000002D58: D1340013 00003F12
	v_add_u32_e64 v20, v19, s31                                // 000000002D60: D1340014 00003F13
	v_add_u32_e64 v21, v20, s31                                // 000000002D68: D1340015 00003F14
	v_add_u32_e64 v22, v21, s31                                // 000000002D70: D1340016 00003F15
	v_add_u32_e64 v23, v22, s31                                // 000000002D78: D1340017 00003F16
	v_add_u32_e64 v24, v23, s31                                // 000000002D80: D1340018 00003F17
	s_mul_i32 s31, s23, 64                                     // 000000002D88: 921FC017
	s_add_u32 s31, s31, s24                                    // 000000002D8C: 801F181F
	s_mul_i32 s32, s31, s28                                    // 000000002D90: 92201C1F
	v_add_u32_e64 v17, v17, s32                                // 000000002D94: D1340011 00004111
	v_add_u32_e64 v18, v18, s32                                // 000000002D9C: D1340012 00004112
	v_add_u32_e64 v19, v19, s32                                // 000000002DA4: D1340013 00004113
	v_add_u32_e64 v20, v20, s32                                // 000000002DAC: D1340014 00004114
	v_add_u32_e64 v21, v21, s32                                // 000000002DB4: D1340015 00004115
	v_add_u32_e64 v22, v22, s32                                // 000000002DBC: D1340016 00004116
	v_add_u32_e64 v23, v23, s32                                // 000000002DC4: D1340017 00004117
	v_add_u32_e64 v24, v24, s32                                // 000000002DCC: D1340018 00004118
	v_lshrrev_b32_e32 v4, 4, v0                                // 000000002DD4: 20080084
	v_lshlrev_b32_e32 v5, 2, v4                                // 000000002DD8: 240A0882
	v_and_b32_e32 v4, 15, v0                                   // 000000002DDC: 2608008F
	v_lshrrev_b32_e32 v6, 2, v4                                // 000000002DE0: 200C0882
	v_lshlrev_b32_e32 v6, 5, v6                                // 000000002DE4: 240C0C85
	v_add_u32_e32 v5, v6, v5                                   // 000000002DE8: 680A0B06
	v_and_b32_e32 v4, 3, v0                                    // 000000002DEC: 26080083
	v_mul_u32_u24_e32 v6, 0x208, v4                            // 000000002DF0: 100C08FF 00000208
	v_add_u32_e32 v5, v6, v5                                   // 000000002DF8: 680A0B06
	v_lshlrev_b32_e32 v25, 2, v5                               // 000000002DFC: 24320A82
	s_mul_i32 s31, s24, 0x820                                  // 000000002E00: 921FFF18 00000820
	s_add_u32 s46, 0, s31                                      // 000000002E08: 802E1F80
	s_add_u32 s47, 0x2080, s46                                 // 000000002E0C: 802F2EFF 00002080
	s_add_u32 s48, 0x2080, s47                                 // 000000002E14: 80302FFF 00002080
	s_mul_i32 s31, s29, s26                                    // 000000002E1C: 921F1A1D
	s_mov_b32 s10, s31                                         // 000000002E20: BE8A001F
	s_mov_b32 s45, 0x80                                        // 000000002E24: BEAD00FF 00000080
	v_lshrrev_b32_e32 v4, 5, v0                                // 000000002E2C: 20080085
	v_lshlrev_b32_e32 v4, 2, v4                                // 000000002E30: 24080882
	v_mul_lo_u32 v26, v4, s29                                  // 000000002E34: D285001A 00003B04
	v_and_b32_e32 v4, 31, v0                                   // 000000002E3C: 2608009F
	v_lshlrev_b32_e32 v4, 2, v4                                // 000000002E40: 24080882
	v_add_u32_e32 v26, v26, v4                                 // 000000002E44: 6834091A
	s_mul_i32 s31, 8, s29                                      // 000000002E48: 921F1D88
	v_add_u32_e64 v27, v26, s31                                // 000000002E4C: D134001B 00003F1A
	v_add_u32_e64 v28, v27, s31                                // 000000002E54: D134001C 00003F1B
	v_add_u32_e64 v29, v28, s31                                // 000000002E5C: D134001D 00003F1C
	v_add_u32_e64 v30, v29, s31                                // 000000002E64: D134001E 00003F1D
	v_add_u32_e64 v31, v30, s31                                // 000000002E6C: D134001F 00003F1E
	v_add_u32_e64 v32, v31, s31                                // 000000002E74: D1340020 00003F1F
	v_add_u32_e64 v33, v32, s31                                // 000000002E7C: D1340021 00003F20
	s_mul_i32 s31, s22, 64                                     // 000000002E84: 921FC016
	s_add_u32 s31, s31, s24                                    // 000000002E88: 801F181F
	s_mul_i32 s32, s31, s29                                    // 000000002E8C: 92201D1F
	v_add_u32_e64 v26, v26, s32                                // 000000002E90: D134001A 0000411A
	v_add_u32_e64 v27, v27, s32                                // 000000002E98: D134001B 0000411B
	v_add_u32_e64 v28, v28, s32                                // 000000002EA0: D134001C 0000411C
	v_add_u32_e64 v29, v29, s32                                // 000000002EA8: D134001D 0000411D
	v_add_u32_e64 v30, v30, s32                                // 000000002EB0: D134001E 0000411E
	v_add_u32_e64 v31, v31, s32                                // 000000002EB8: D134001F 0000411F
	v_add_u32_e64 v32, v32, s32                                // 000000002EC0: D1340020 00004120
	v_add_u32_e64 v33, v33, s32                                // 000000002EC8: D1340021 00004121
	s_cmp_le_u32 s52, 1                                        // 000000002ED0: BF0B8134
	s_cbranch_scc1 label_017F                                  // 000000002ED4: BF850049
	s_lshr_b32 s32, s27, 6                                     // 000000002ED8: 8F20861B
	v_cvt_f32_u32_e32 v4, s52                                  // 000000002EDC: 7E080C34
	s_sub_i32 s31, 0, s52                                      // 000000002EE0: 819F3480
	v_rcp_iflag_f32_e32 v4, v4                                 // 000000002EE4: 7E084704
	s_nop 0                                                    // 000000002EE8: BF800000
	v_mul_f32_e32 v4, 0x4f7ffffe, v4                           // 000000002EEC: 0A0808FF 4F7FFFFE
	v_cvt_u32_f32_e32 v4, v4                                   // 000000002EF4: 7E080F04
	v_mul_lo_u32 v5, s31, v4                                   // 000000002EF8: D2850005 0002081F
	v_mul_hi_u32 v5, v4, v5                                    // 000000002F00: D2860005 00020B04
	v_add_u32_e32 v4, v4, v5                                   // 000000002F08: 68080B04
	v_mul_hi_u32 v4, s32, v4                                   // 000000002F0C: D2860004 00020820
	v_mul_lo_u32 v5, v4, s52                                   // 000000002F14: D2850005 00006904
	v_sub_u32_e32 v7, s32, v5                                  // 000000002F1C: 6A0E0A20
	v_add_u32_e32 v6, 1, v4                                    // 000000002F20: 680C0881
	v_cmp_le_u32_e32 vcc, s52, v7                              // 000000002F24: 7D960E34
	v_subrev_u32_e32 v5, s52, v7                               // 000000002F28: 6C0A0E34
	s_nop 0                                                    // 000000002F2C: BF800000
	v_cndmask_b32_e32 v4, v4, v6, vcc                          // 000000002F30: 00080D04
	v_cndmask_b32_e32 v7, v7, v5, vcc                          // 000000002F34: 000E0B07
	v_add_u32_e32 v5, 1, v4                                    // 000000002F38: 680A0881
	v_cmp_le_u32_e32 vcc, s52, v7                              // 000000002F3C: 7D960E34
	s_nop 1                                                    // 000000002F40: BF800001
	v_cndmask_b32_e32 v7, v4, v5, vcc                          // 000000002F44: 000E0B04
	s_nop 3                                                    // 000000002F48: BF800003
	v_readfirstlane_b32 s32, v7                                // 000000002F4C: 7E400507
	s_nop 3                                                    // 000000002F50: BF800003
	s_mul_i32 s32, s32, 64                                     // 000000002F54: 9220C020
	s_mul_i32 s31, s53, s32                                    // 000000002F58: 921F2035
	s_sub_i32 s56, s27, s31                                    // 000000002F5C: 81B81F1B
	s_sub_i32 s31, s52, 1                                      // 000000002F60: 819F8134
	s_cmp_eq_i32 s53, s31                                      // 000000002F64: BF001F35
	s_cselect_b32 s27, s56, s32                                // 000000002F68: 851B2038
	s_mul_i32 s31, s32, 2                                      // 000000002F6C: 921F8220
	s_mul_i32 s31, s31, s53                                    // 000000002F70: 921F351F
	v_add_u32_e64 v17, v17, s31                                // 000000002F74: D1340011 00003F11
	v_add_u32_e64 v18, v18, s31                                // 000000002F7C: D1340012 00003F12
	v_add_u32_e64 v19, v19, s31                                // 000000002F84: D1340013 00003F13
	v_add_u32_e64 v20, v20, s31                                // 000000002F8C: D1340014 00003F14
	v_add_u32_e64 v21, v21, s31                                // 000000002F94: D1340015 00003F15
	v_add_u32_e64 v22, v22, s31                                // 000000002F9C: D1340016 00003F16
	v_add_u32_e64 v23, v23, s31                                // 000000002FA4: D1340017 00003F17
	v_add_u32_e64 v24, v24, s31                                // 000000002FAC: D1340018 00003F18
	s_mul_i32 s31, s32, 2                                      // 000000002FB4: 921F8220
	s_mul_i32 s31, s31, s53                                    // 000000002FB8: 921F351F
	v_add_u32_e64 v26, v26, s31                                // 000000002FBC: D134001A 00003F1A
	v_add_u32_e64 v27, v27, s31                                // 000000002FC4: D134001B 00003F1B
	v_add_u32_e64 v28, v28, s31                                // 000000002FCC: D134001C 00003F1C
	v_add_u32_e64 v29, v29, s31                                // 000000002FD4: D134001D 00003F1D
	v_add_u32_e64 v30, v30, s31                                // 000000002FDC: D134001E 00003F1E
	v_add_u32_e64 v31, v31, s31                                // 000000002FE4: D134001F 00003F1F
	v_add_u32_e64 v32, v32, s31                                // 000000002FEC: D1340020 00003F20
	v_add_u32_e64 v33, v33, s31                                // 000000002FF4: D1340021 00003F21

0000000000002ffc <label_017F>:
	v_lshrrev_b32_e32 v4, 4, v0                                // 000000002FFC: 20080084
	v_lshlrev_b32_e32 v5, 2, v4                                // 000000003000: 240A0882
	v_and_b32_e32 v4, 15, v0                                   // 000000003004: 2608008F
	v_lshrrev_b32_e32 v6, 2, v4                                // 000000003008: 200C0882
	v_lshlrev_b32_e32 v6, 5, v6                                // 00000000300C: 240C0C85
	v_add_u32_e32 v5, v6, v5                                   // 000000003010: 680A0B06
	v_and_b32_e32 v4, 3, v0                                    // 000000003014: 26080083
	v_mul_u32_u24_e32 v6, 0x208, v4                            // 000000003018: 100C08FF 00000208
	v_add_u32_e32 v5, v6, v5                                   // 000000003020: 680A0B06
	v_lshlrev_b32_e32 v34, 2, v5                               // 000000003024: 24440A82
	s_mul_i32 s31, s24, 0x200                                  // 000000003028: 921FFF18 00000200
	v_add_u32_e32 v34, s31, v34                                // 000000003030: 6844441F
	s_mul_i32 s31, s24, 0x820                                  // 000000003034: 921FFF18 00000820
	s_add_u32 s49, 0x6180, s31                                 // 00000000303C: 80311FFF 00006180
	s_add_u32 s50, 0x2080, s49                                 // 000000003044: 803231FF 00002080
	s_add_u32 s51, 0x2080, s50                                 // 00000000304C: 803332FF 00002080
	s_cmp_eq_u32 s61, 1                                        // 000000003054: BF06813D
	s_cbranch_scc0 label_01C8                                  // 000000003058: BF840031
	s_cmp_eq_i32 s53, 0                                        // 00000000305C: BF008035
	s_cbranch_scc0 label_01C8                                  // 000000003060: BF84002F
	s_mul_i32 s31, 2, s26                                      // 000000003064: 921F1A82
	s_mov_b32 s38, s31                                         // 000000003068: BEA6001F
	v_lshrrev_b32_e32 v4, 4, v0                                // 00000000306C: 20080084
	v_mul_i32_i24_e32 v60, 8, v4                               // 000000003070: 0C780888
	s_mul_i32 s31, 32, s24                                     // 000000003074: 921F18A0
	v_add_u32_e32 v60, s31, v60                                // 000000003078: 6878781F
	s_mul_i32 s32, s22, 64                                     // 00000000307C: 9220C016
	s_mul_i32 s32, s32, 2                                      // 000000003080: 92208220
	v_add_u32_e32 v60, s32, v60                                // 000000003084: 68787820
	v_mov_b32_e32 v62, 0                                       // 000000003088: 7E7C0280
	v_mov_b32_e32 v63, 0                                       // 00000000308C: 7E7E0280
	buffer_load_dwordx2 v[62:63], v60, s[36:39], 0 offen       // 000000003090: E0541000 80093E3C
	s_waitcnt vmcnt(0)                                         // 000000003098: BF8C0F70
	v_mov_b32_e32 v4, 0xffff0000                               // 00000000309C: 7E0802FF FFFF0000
	v_and_b32_e32 v4, v62, v4                                  // 0000000030A4: 2608093E
	v_mov_b32_e32 v5, 0xffff                                   // 0000000030A8: 7E0A02FF 0000FFFF
	v_and_b32_e32 v5, v62, v5                                  // 0000000030B0: 260A0B3E
	v_mov_b32_e32 v65, v4                                      // 0000000030B4: 7E820304
	v_lshlrev_b32_e32 v64, 16, v5                              // 0000000030B8: 24800A90
	v_mov_b32_e32 v4, 0xffff0000                               // 0000000030BC: 7E0802FF FFFF0000
	v_and_b32_e32 v4, v63, v4                                  // 0000000030C4: 2608093F
	v_mov_b32_e32 v5, 0xffff                                   // 0000000030C8: 7E0A02FF 0000FFFF
	v_and_b32_e32 v5, v63, v5                                  // 0000000030D0: 260A0B3F
	v_mov_b32_e32 v67, v4                                      // 0000000030D4: 7E860304
	v_lshlrev_b32_e32 v66, 16, v5                              // 0000000030D8: 24840A90
	v_mov_b32_e32 v36, v64                                     // 0000000030DC: 7E480340
	v_mov_b32_e32 v37, v65                                     // 0000000030E0: 7E4A0341
	v_mov_b32_e32 v38, v66                                     // 0000000030E4: 7E4C0342
	v_mov_b32_e32 v39, v67                                     // 0000000030E8: 7E4E0343
	v_mov_b32_e32 v40, v64                                     // 0000000030EC: 7E500340
	v_mov_b32_e32 v41, v65                                     // 0000000030F0: 7E520341
	v_mov_b32_e32 v42, v66                                     // 0000000030F4: 7E540342
	v_mov_b32_e32 v43, v67                                     // 0000000030F8: 7E560343
	v_mov_b32_e32 v44, v64                                     // 0000000030FC: 7E580340
	v_mov_b32_e32 v45, v65                                     // 000000003100: 7E5A0341
	v_mov_b32_e32 v46, v66                                     // 000000003104: 7E5C0342
	v_mov_b32_e32 v47, v67                                     // 000000003108: 7E5E0343
	v_mov_b32_e32 v48, v64                                     // 00000000310C: 7E600340
	v_mov_b32_e32 v49, v65                                     // 000000003110: 7E620341
	v_mov_b32_e32 v50, v66                                     // 000000003114: 7E640342
	v_mov_b32_e32 v51, v67                                     // 000000003118: 7E660343
	s_branch label_01D8                                        // 00000000311C: BF820010

0000000000003120 <label_01C8>:
	v_mov_b32_e32 v36, 0                                       // 000000003120: 7E480280
	v_mov_b32_e32 v37, 0                                       // 000000003124: 7E4A0280
	v_mov_b32_e32 v38, 0                                       // 000000003128: 7E4C0280
	v_mov_b32_e32 v39, 0                                       // 00000000312C: 7E4E0280
	v_mov_b32_e32 v40, 0                                       // 000000003130: 7E500280
	v_mov_b32_e32 v41, 0                                       // 000000003134: 7E520280
	v_mov_b32_e32 v42, 0                                       // 000000003138: 7E540280
	v_mov_b32_e32 v43, 0                                       // 00000000313C: 7E560280
	v_mov_b32_e32 v44, 0                                       // 000000003140: 7E580280
	v_mov_b32_e32 v45, 0                                       // 000000003144: 7E5A0280
	v_mov_b32_e32 v46, 0                                       // 000000003148: 7E5C0280
	v_mov_b32_e32 v47, 0                                       // 00000000314C: 7E5E0280
	v_mov_b32_e32 v48, 0                                       // 000000003150: 7E600280
	v_mov_b32_e32 v49, 0                                       // 000000003154: 7E620280
	v_mov_b32_e32 v50, 0                                       // 000000003158: 7E640280
	v_mov_b32_e32 v51, 0                                       // 00000000315C: 7E660280

0000000000003160 <label_01D8>:
	s_add_u32 m0, 0, s46                                       // 000000003160: 807C2E80
	buffer_load_dword v17, s[4:7], 0 offen lds                 // 000000003164: E0511000 80010011
	s_add_u32 m0, 0x100, s46                                   // 00000000316C: 807C2EFF 00000100
	buffer_load_dword v18, s[4:7], 0 offen lds                 // 000000003174: E0511000 80010012
	s_add_u32 m0, 0x200, s46                                   // 00000000317C: 807C2EFF 00000200
	buffer_load_dword v19, s[4:7], 0 offen lds                 // 000000003184: E0511000 80010013
	s_add_u32 m0, 0x300, s46                                   // 00000000318C: 807C2EFF 00000300
	buffer_load_dword v20, s[4:7], 0 offen lds                 // 000000003194: E0511000 80010014
	s_add_u32 m0, 0x400, s46                                   // 00000000319C: 807C2EFF 00000400
	buffer_load_dword v21, s[4:7], 0 offen lds                 // 0000000031A4: E0511000 80010015
	s_add_u32 m0, 0x500, s46                                   // 0000000031AC: 807C2EFF 00000500
	buffer_load_dword v22, s[4:7], 0 offen lds                 // 0000000031B4: E0511000 80010016
	s_add_u32 m0, 0x600, s46                                   // 0000000031BC: 807C2EFF 00000600
	buffer_load_dword v23, s[4:7], 0 offen lds                 // 0000000031C4: E0511000 80010017
	s_add_u32 m0, 0x700, s46                                   // 0000000031CC: 807C2EFF 00000700
	buffer_load_dword v24, s[4:7], 0 offen lds                 // 0000000031D4: E0511000 80010018
	s_add_u32 s4, s44, s4                                      // 0000000031DC: 8004042C
	s_addc_u32 s5, 0, s5                                       // 0000000031E0: 82050580
	s_sub_u32 s6, s6, s44                                      // 0000000031E4: 80862C06
	s_add_u32 m0, 0, s49                                       // 0000000031E8: 807C3180
	buffer_load_dword v26, s[8:11], 0 offen lds                // 0000000031EC: E0511000 8002001A
	s_add_u32 m0, 0x100, s49                                   // 0000000031F4: 807C31FF 00000100
	buffer_load_dword v27, s[8:11], 0 offen lds                // 0000000031FC: E0511000 8002001B
	s_add_u32 m0, 0x200, s49                                   // 000000003204: 807C31FF 00000200
	buffer_load_dword v28, s[8:11], 0 offen lds                // 00000000320C: E0511000 8002001C
	s_add_u32 m0, 0x300, s49                                   // 000000003214: 807C31FF 00000300
	buffer_load_dword v29, s[8:11], 0 offen lds                // 00000000321C: E0511000 8002001D
	s_add_u32 m0, 0x400, s49                                   // 000000003224: 807C31FF 00000400
	buffer_load_dword v30, s[8:11], 0 offen lds                // 00000000322C: E0511000 8002001E
	s_add_u32 m0, 0x500, s49                                   // 000000003234: 807C31FF 00000500
	buffer_load_dword v31, s[8:11], 0 offen lds                // 00000000323C: E0511000 8002001F
	s_add_u32 m0, 0x600, s49                                   // 000000003244: 807C31FF 00000600
	buffer_load_dword v32, s[8:11], 0 offen lds                // 00000000324C: E0511000 80020020
	s_add_u32 m0, 0x700, s49                                   // 000000003254: 807C31FF 00000700
	buffer_load_dword v33, s[8:11], 0 offen lds                // 00000000325C: E0511000 80020021
	s_add_u32 s8, s45, s8                                      // 000000003264: 8008082D
	s_addc_u32 s9, 0, s9                                       // 000000003268: 82090980
	s_sub_u32 s10, s10, s45                                    // 00000000326C: 808A2D0A
	s_add_u32 m0, 0, s47                                       // 000000003270: 807C2F80
	buffer_load_dword v17, s[4:7], 0 offen lds                 // 000000003274: E0511000 80010011
	s_add_u32 m0, 0x100, s47                                   // 00000000327C: 807C2FFF 00000100
	buffer_load_dword v18, s[4:7], 0 offen lds                 // 000000003284: E0511000 80010012
	s_add_u32 m0, 0x200, s47                                   // 00000000328C: 807C2FFF 00000200
	buffer_load_dword v19, s[4:7], 0 offen lds                 // 000000003294: E0511000 80010013
	s_add_u32 m0, 0x300, s47                                   // 00000000329C: 807C2FFF 00000300
	buffer_load_dword v20, s[4:7], 0 offen lds                 // 0000000032A4: E0511000 80010014
	s_add_u32 m0, 0x400, s47                                   // 0000000032AC: 807C2FFF 00000400
	buffer_load_dword v21, s[4:7], 0 offen lds                 // 0000000032B4: E0511000 80010015
	s_add_u32 m0, 0x500, s47                                   // 0000000032BC: 807C2FFF 00000500
	buffer_load_dword v22, s[4:7], 0 offen lds                 // 0000000032C4: E0511000 80010016
	s_add_u32 m0, 0x600, s47                                   // 0000000032CC: 807C2FFF 00000600
	buffer_load_dword v23, s[4:7], 0 offen lds                 // 0000000032D4: E0511000 80010017
	s_add_u32 m0, 0x700, s47                                   // 0000000032DC: 807C2FFF 00000700
	buffer_load_dword v24, s[4:7], 0 offen lds                 // 0000000032E4: E0511000 80010018
	s_add_u32 s4, s44, s4                                      // 0000000032EC: 8004042C
	s_addc_u32 s5, 0, s5                                       // 0000000032F0: 82050580
	s_sub_u32 s6, s6, s44                                      // 0000000032F4: 80862C06
	s_add_u32 m0, 0, s50                                       // 0000000032F8: 807C3280
	buffer_load_dword v26, s[8:11], 0 offen lds                // 0000000032FC: E0511000 8002001A
	s_add_u32 m0, 0x100, s50                                   // 000000003304: 807C32FF 00000100
	buffer_load_dword v27, s[8:11], 0 offen lds                // 00000000330C: E0511000 8002001B
	s_add_u32 m0, 0x200, s50                                   // 000000003314: 807C32FF 00000200
	buffer_load_dword v28, s[8:11], 0 offen lds                // 00000000331C: E0511000 8002001C
	s_add_u32 m0, 0x300, s50                                   // 000000003324: 807C32FF 00000300
	buffer_load_dword v29, s[8:11], 0 offen lds                // 00000000332C: E0511000 8002001D
	s_add_u32 m0, 0x400, s50                                   // 000000003334: 807C32FF 00000400
	buffer_load_dword v30, s[8:11], 0 offen lds                // 00000000333C: E0511000 8002001E
	s_add_u32 m0, 0x500, s50                                   // 000000003344: 807C32FF 00000500
	buffer_load_dword v31, s[8:11], 0 offen lds                // 00000000334C: E0511000 8002001F
	s_add_u32 m0, 0x600, s50                                   // 000000003354: 807C32FF 00000600
	buffer_load_dword v32, s[8:11], 0 offen lds                // 00000000335C: E0511000 80020020
	s_add_u32 m0, 0x700, s50                                   // 000000003364: 807C32FF 00000700
	buffer_load_dword v33, s[8:11], 0 offen lds                // 00000000336C: E0511000 80020021
	s_add_u32 s8, s45, s8                                      // 000000003374: 8008082D
	s_addc_u32 s9, 0, s9                                       // 000000003378: 82090980
	s_sub_u32 s10, s10, s45                                    // 00000000337C: 808A2D0A
	s_add_u32 m0, 0, s48                                       // 000000003380: 807C3080
	buffer_load_dword v17, s[4:7], 0 offen lds                 // 000000003384: E0511000 80010011
	s_add_u32 m0, 0x100, s48                                   // 00000000338C: 807C30FF 00000100
	buffer_load_dword v18, s[4:7], 0 offen lds                 // 000000003394: E0511000 80010012
	s_add_u32 m0, 0x200, s48                                   // 00000000339C: 807C30FF 00000200
	buffer_load_dword v19, s[4:7], 0 offen lds                 // 0000000033A4: E0511000 80010013
	s_add_u32 m0, 0x300, s48                                   // 0000000033AC: 807C30FF 00000300
	buffer_load_dword v20, s[4:7], 0 offen lds                 // 0000000033B4: E0511000 80010014
	s_add_u32 m0, 0x400, s48                                   // 0000000033BC: 807C30FF 00000400
	buffer_load_dword v21, s[4:7], 0 offen lds                 // 0000000033C4: E0511000 80010015
	s_add_u32 m0, 0x500, s48                                   // 0000000033CC: 807C30FF 00000500
	buffer_load_dword v22, s[4:7], 0 offen lds                 // 0000000033D4: E0511000 80010016
	s_add_u32 m0, 0x600, s48                                   // 0000000033DC: 807C30FF 00000600
	buffer_load_dword v23, s[4:7], 0 offen lds                 // 0000000033E4: E0511000 80010017
	s_add_u32 m0, 0x700, s48                                   // 0000000033EC: 807C30FF 00000700
	buffer_load_dword v24, s[4:7], 0 offen lds                 // 0000000033F4: E0511000 80010018
	s_add_u32 s4, s44, s4                                      // 0000000033FC: 8004042C
	s_addc_u32 s5, 0, s5                                       // 000000003400: 82050580
	s_sub_u32 s6, s6, s44                                      // 000000003404: 80862C06
	s_add_u32 m0, 0, s51                                       // 000000003408: 807C3380
	buffer_load_dword v26, s[8:11], 0 offen lds                // 00000000340C: E0511000 8002001A
	s_add_u32 m0, 0x100, s51                                   // 000000003414: 807C33FF 00000100
	buffer_load_dword v27, s[8:11], 0 offen lds                // 00000000341C: E0511000 8002001B
	s_add_u32 m0, 0x200, s51                                   // 000000003424: 807C33FF 00000200
	buffer_load_dword v28, s[8:11], 0 offen lds                // 00000000342C: E0511000 8002001C
	s_add_u32 m0, 0x300, s51                                   // 000000003434: 807C33FF 00000300
	buffer_load_dword v29, s[8:11], 0 offen lds                // 00000000343C: E0511000 8002001D
	s_add_u32 m0, 0x400, s51                                   // 000000003444: 807C33FF 00000400
	buffer_load_dword v30, s[8:11], 0 offen lds                // 00000000344C: E0511000 8002001E
	s_add_u32 m0, 0x500, s51                                   // 000000003454: 807C33FF 00000500
	buffer_load_dword v31, s[8:11], 0 offen lds                // 00000000345C: E0511000 8002001F
	s_add_u32 m0, 0x600, s51                                   // 000000003464: 807C33FF 00000600
	buffer_load_dword v32, s[8:11], 0 offen lds                // 00000000346C: E0511000 80020020
	s_add_u32 m0, 0x700, s51                                   // 000000003474: 807C33FF 00000700
	buffer_load_dword v33, s[8:11], 0 offen lds                // 00000000347C: E0511000 80020021
	s_add_u32 s8, s45, s8                                      // 000000003484: 8008082D
	s_addc_u32 s9, 0, s9                                       // 000000003488: 82090980
	s_sub_u32 s10, s10, s45                                    // 00000000348C: 808A2D0A
	s_mov_b32 s34, s27                                         // 000000003490: BEA2001B
	s_mov_b32 s33, 0                                           // 000000003494: BEA10080
	s_mul_i32 s31, s23, 64                                     // 000000003498: 921FC017
	s_sub_i32 s55, s25, s31                                    // 00000000349C: 81B71F19
	s_waitcnt vmcnt(32)                                        // 0000000034A0: BF8C8F70
	s_barrier                                                  // 0000000034A4: BF8A0000
	s_waitcnt lgkmcnt(0)                                       // 0000000034A8: BF8CC07F
	s_or_b32 s31, s53, s24                                     // 0000000034AC: 871F1835
	s_cmp_eq_u32 s31, 0                                        // 0000000034B0: BF06801F
	s_cbranch_scc0 label_02B0                                  // 0000000034B4: BF840002
	s_store_dword s52, s[40:41], s62 glc                       // 0000000034B8: C0410D14 0000003E

00000000000034c0 <label_02B0>:
	ds_read_b128 a[0:3], v25                                   // 0000000034C0: DBFE0000 00000019
	ds_read_b128 a[4:7], v25 offset:64                         // 0000000034C8: DBFE0040 04000019
	ds_read_b128 a[8:11], v25 offset:512                       // 0000000034D0: DBFE0200 08000019
	ds_read_b128 a[12:15], v25 offset:576                      // 0000000034D8: DBFE0240 0C000019
	ds_read_b128 a[16:19], v25 offset:1024                     // 0000000034E0: DBFE0400 10000019
	ds_read_b128 a[20:23], v25 offset:1088                     // 0000000034E8: DBFE0440 14000019
	ds_read_b128 a[24:27], v25 offset:1536                     // 0000000034F0: DBFE0600 18000019
	ds_read_b128 a[28:31], v25 offset:1600                     // 0000000034F8: DBFE0640 1C000019
	ds_read_b128 a[64:67], v34 offset:24960                    // 000000003500: DBFE6180 40000022
	ds_read_b128 a[68:71], v34 offset:25024                    // 000000003508: DBFE61C0 44000022
	s_cmp_lt_i32 s24, 2                                        // 000000003510: BF048218
	s_cbranch_scc0 label_05D9                                  // 000000003514: BF840313

0000000000003518 <label_02C6>:
	s_waitcnt vmcnt(16) lgkmcnt(0)                             // 000000003518: BF8C4070
	s_barrier                                                  // 00000000351C: BF8A0000
	v_mfma_f32_16x16x16_bf16 v[36:39], a[64:65], a[0:1], v[36:39]// 000000003520: D3E10024 1C920140
	s_add_u32 m0, 0, s46                                       // 000000003528: 807C2E80
	buffer_load_dword v17, s[4:7], 0 offen lds                 // 00000000352C: E0511000 80010011
	v_mfma_f32_16x16x16_bf16 v[36:39], a[66:67], a[2:3], v[36:39]// 000000003534: D3E10024 1C920542
	s_add_u32 m0, 0x100, s46                                   // 00000000353C: 807C2EFF 00000100
	buffer_load_dword v18, s[4:7], 0 offen lds                 // 000000003544: E0511000 80010012
	ds_read_b128 a[32:35], v25 offset:8320                     // 00000000354C: DBFE2080 20000019
	ds_read_b128 a[36:39], v25 offset:8384                     // 000000003554: DBFE20C0 24000019
	v_mfma_f32_16x16x16_bf16 v[36:39], a[68:69], a[4:5], v[36:39]// 00000000355C: D3E10024 1C920944
	s_add_u32 m0, 0x200, s46                                   // 000000003564: 807C2EFF 00000200
	buffer_load_dword v19, s[4:7], 0 offen lds                 // 00000000356C: E0511000 80010013
	v_mfma_f32_16x16x16_bf16 v[36:39], a[70:71], a[6:7], v[36:39]// 000000003574: D3E10024 1C920D46
	s_add_u32 m0, 0x300, s46                                   // 00000000357C: 807C2EFF 00000300
	buffer_load_dword v20, s[4:7], 0 offen lds                 // 000000003584: E0511000 80010014
	ds_read_b128 a[40:43], v25 offset:8832                     // 00000000358C: DBFE2280 28000019
	ds_read_b128 a[44:47], v25 offset:8896                     // 000000003594: DBFE22C0 2C000019
	v_mfma_f32_16x16x16_bf16 v[40:43], a[64:65], a[8:9], v[40:43]// 00000000359C: D3E10028 1CA21140
	s_add_u32 m0, 0x400, s46                                   // 0000000035A4: 807C2EFF 00000400
	buffer_load_dword v21, s[4:7], 0 offen lds                 // 0000000035AC: E0511000 80010015
	v_mfma_f32_16x16x16_bf16 v[40:43], a[66:67], a[10:11], v[40:43]// 0000000035B4: D3E10028 1CA21542
	s_add_u32 m0, 0x500, s46                                   // 0000000035BC: 807C2EFF 00000500
	buffer_load_dword v22, s[4:7], 0 offen lds                 // 0000000035C4: E0511000 80010016
	ds_read_b128 a[48:51], v25 offset:9344                     // 0000000035CC: DBFE2480 30000019
	ds_read_b128 a[52:55], v25 offset:9408                     // 0000000035D4: DBFE24C0 34000019
	v_mfma_f32_16x16x16_bf16 v[40:43], a[68:69], a[12:13], v[40:43]// 0000000035DC: D3E10028 1CA21944
	s_add_u32 m0, 0x600, s46                                   // 0000000035E4: 807C2EFF 00000600
	buffer_load_dword v23, s[4:7], 0 offen lds                 // 0000000035EC: E0511000 80010017
	v_mfma_f32_16x16x16_bf16 v[40:43], a[70:71], a[14:15], v[40:43]// 0000000035F4: D3E10028 1CA21D46
	s_add_u32 m0, 0x700, s46                                   // 0000000035FC: 807C2EFF 00000700
	buffer_load_dword v24, s[4:7], 0 offen lds                 // 000000003604: E0511000 80010018
	ds_read_b128 a[56:59], v25 offset:9856                     // 00000000360C: DBFE2680 38000019
	ds_read_b128 a[60:63], v25 offset:9920                     // 000000003614: DBFE26C0 3C000019
	v_mfma_f32_16x16x16_bf16 v[44:47], a[64:65], a[16:17], v[44:47]// 00000000361C: D3E1002C 1CB22140
	s_add_u32 s31, 0x100, s33                                  // 000000003624: 801F21FF 00000100
	s_cmp_lt_u32 s31, s34                                      // 00000000362C: BF0A221F
	s_cselect_b32 s44, s44, 0                                  // 000000003630: 852C802C
	s_add_u32 m0, 0, s49                                       // 000000003634: 807C3180
	buffer_load_dword v26, s[8:11], 0 offen lds                // 000000003638: E0511000 8002001A
	v_mfma_f32_16x16x16_bf16 v[44:47], a[66:67], a[18:19], v[44:47]// 000000003640: D3E1002C 1CB22542
	s_add_u32 m0, 0x100, s49                                   // 000000003648: 807C31FF 00000100
	buffer_load_dword v27, s[8:11], 0 offen lds                // 000000003650: E0511000 8002001B
	s_add_u32 s4, s44, s4                                      // 000000003658: 8004042C
	s_addc_u32 s5, 0, s5                                       // 00000000365C: 82050580
	ds_read_b128 a[72:75], v34 offset:33280                    // 000000003660: DBFE8200 48000022
	ds_read_b128 a[76:79], v34 offset:33344                    // 000000003668: DBFE8240 4C000022
	v_mfma_f32_16x16x16_bf16 v[44:47], a[68:69], a[20:21], v[44:47]// 000000003670: D3E1002C 1CB22944
	s_add_u32 m0, 0x200, s49                                   // 000000003678: 807C31FF 00000200
	buffer_load_dword v28, s[8:11], 0 offen lds                // 000000003680: E0511000 8002001C
	v_mfma_f32_16x16x16_bf16 v[44:47], a[70:71], a[22:23], v[44:47]// 000000003688: D3E1002C 1CB22D46
	s_add_u32 m0, 0x300, s49                                   // 000000003690: 807C31FF 00000300
	buffer_load_dword v29, s[8:11], 0 offen lds                // 000000003698: E0511000 8002001D
	v_mfma_f32_16x16x16_bf16 v[48:51], a[64:65], a[24:25], v[48:51]// 0000000036A0: D3E10030 1CC23140
	s_add_u32 m0, 0x400, s49                                   // 0000000036A8: 807C31FF 00000400
	buffer_load_dword v30, s[8:11], 0 offen lds                // 0000000036B0: E0511000 8002001E
	v_mfma_f32_16x16x16_bf16 v[48:51], a[66:67], a[26:27], v[48:51]// 0000000036B8: D3E10030 1CC23542
	s_add_u32 m0, 0x500, s49                                   // 0000000036C0: 807C31FF 00000500
	buffer_load_dword v31, s[8:11], 0 offen lds                // 0000000036C8: E0511000 8002001F
	v_mfma_f32_16x16x16_bf16 v[48:51], a[68:69], a[28:29], v[48:51]// 0000000036D0: D3E10030 1CC23944
	s_add_u32 m0, 0x600, s49                                   // 0000000036D8: 807C31FF 00000600
	buffer_load_dword v32, s[8:11], 0 offen lds                // 0000000036E0: E0511000 80020020
	v_mfma_f32_16x16x16_bf16 v[48:51], a[70:71], a[30:31], v[48:51]// 0000000036E8: D3E10030 1CC23D46
	s_add_u32 m0, 0x700, s49                                   // 0000000036F0: 807C31FF 00000700
	buffer_load_dword v33, s[8:11], 0 offen lds                // 0000000036F8: E0511000 80020021
	s_add_u32 s31, 0x100, s33                                  // 000000003700: 801F21FF 00000100
	s_cmp_lt_u32 s31, s34                                      // 000000003708: BF0A221F
	s_cselect_b32 s45, s45, 0                                  // 00000000370C: 852D802D
	s_add_u32 s8, s45, s8                                      // 000000003710: 8008082D
	s_addc_u32 s9, 0, s9                                       // 000000003714: 82090980
	s_addk_i32 s33, 0x40                                       // 000000003718: B7210040
	s_cmp_lt_i32 s33, s34                                      // 00000000371C: BF042221
	s_cbranch_scc0 label_08EC                                  // 000000003720: BF8405A3
	s_waitcnt vmcnt(16) lgkmcnt(0)                             // 000000003724: BF8C4070
	s_barrier                                                  // 000000003728: BF8A0000
	v_mfma_f32_16x16x16_bf16 v[36:39], a[72:73], a[32:33], v[36:39]// 00000000372C: D3E10024 1C924148
	s_add_u32 m0, 0, s47                                       // 000000003734: 807C2F80
	buffer_load_dword v17, s[4:7], 0 offen lds                 // 000000003738: E0511000 80010011
	v_mfma_f32_16x16x16_bf16 v[36:39], a[74:75], a[34:35], v[36:39]// 000000003740: D3E10024 1C92454A
	s_add_u32 m0, 0x100, s47                                   // 000000003748: 807C2FFF 00000100
	buffer_load_dword v18, s[4:7], 0 offen lds                 // 000000003750: E0511000 80010012
	ds_read_b128 a[0:3], v25 offset:16640                      // 000000003758: DBFE4100 00000019
	ds_read_b128 a[4:7], v25 offset:16704                      // 000000003760: DBFE4140 04000019
	v_mfma_f32_16x16x16_bf16 v[36:39], a[76:77], a[36:37], v[36:39]// 000000003768: D3E10024 1C92494C
	s_add_u32 m0, 0x200, s47                                   // 000000003770: 807C2FFF 00000200
	buffer_load_dword v19, s[4:7], 0 offen lds                 // 000000003778: E0511000 80010013
	v_mfma_f32_16x16x16_bf16 v[36:39], a[78:79], a[38:39], v[36:39]// 000000003780: D3E10024 1C924D4E
	s_add_u32 m0, 0x300, s47                                   // 000000003788: 807C2FFF 00000300
	buffer_load_dword v20, s[4:7], 0 offen lds                 // 000000003790: E0511000 80010014
	ds_read_b128 a[8:11], v25 offset:17152                     // 000000003798: DBFE4300 08000019
	ds_read_b128 a[12:15], v25 offset:17216                    // 0000000037A0: DBFE4340 0C000019
	v_mfma_f32_16x16x16_bf16 v[40:43], a[72:73], a[40:41], v[40:43]// 0000000037A8: D3E10028 1CA25148
	s_add_u32 m0, 0x400, s47                                   // 0000000037B0: 807C2FFF 00000400
	buffer_load_dword v21, s[4:7], 0 offen lds                 // 0000000037B8: E0511000 80010015
	v_mfma_f32_16x16x16_bf16 v[40:43], a[74:75], a[42:43], v[40:43]// 0000000037C0: D3E10028 1CA2554A
	s_add_u32 m0, 0x500, s47                                   // 0000000037C8: 807C2FFF 00000500
	buffer_load_dword v22, s[4:7], 0 offen lds                 // 0000000037D0: E0511000 80010016
	ds_read_b128 a[16:19], v25 offset:17664                    // 0000000037D8: DBFE4500 10000019
	ds_read_b128 a[20:23], v25 offset:17728                    // 0000000037E0: DBFE4540 14000019
	v_mfma_f32_16x16x16_bf16 v[40:43], a[76:77], a[44:45], v[40:43]// 0000000037E8: D3E10028 1CA2594C
	s_add_u32 m0, 0x600, s47                                   // 0000000037F0: 807C2FFF 00000600
	buffer_load_dword v23, s[4:7], 0 offen lds                 // 0000000037F8: E0511000 80010017
	v_mfma_f32_16x16x16_bf16 v[40:43], a[78:79], a[46:47], v[40:43]// 000000003800: D3E10028 1CA25D4E
	s_add_u32 m0, 0x700, s47                                   // 000000003808: 807C2FFF 00000700
	buffer_load_dword v24, s[4:7], 0 offen lds                 // 000000003810: E0511000 80010018
	ds_read_b128 a[24:27], v25 offset:18176                    // 000000003818: DBFE4700 18000019
	ds_read_b128 a[28:31], v25 offset:18240                    // 000000003820: DBFE4740 1C000019
	v_mfma_f32_16x16x16_bf16 v[44:47], a[72:73], a[48:49], v[44:47]// 000000003828: D3E1002C 1CB26148
	s_add_u32 s31, 0x100, s33                                  // 000000003830: 801F21FF 00000100
	s_cmp_lt_u32 s31, s34                                      // 000000003838: BF0A221F
	s_cselect_b32 s44, s44, 0                                  // 00000000383C: 852C802C
	s_add_u32 m0, 0, s50                                       // 000000003840: 807C3280
	buffer_load_dword v26, s[8:11], 0 offen lds                // 000000003844: E0511000 8002001A
	v_mfma_f32_16x16x16_bf16 v[44:47], a[74:75], a[50:51], v[44:47]// 00000000384C: D3E1002C 1CB2654A
	s_add_u32 m0, 0x100, s50                                   // 000000003854: 807C32FF 00000100
	buffer_load_dword v27, s[8:11], 0 offen lds                // 00000000385C: E0511000 8002001B
	s_add_u32 s4, s44, s4                                      // 000000003864: 8004042C
	s_addc_u32 s5, 0, s5                                       // 000000003868: 82050580
	ds_read_b128 a[64:67], v34 offset:41600                    // 00000000386C: DBFEA280 40000022
	ds_read_b128 a[68:71], v34 offset:41664                    // 000000003874: DBFEA2C0 44000022
	v_mfma_f32_16x16x16_bf16 v[44:47], a[76:77], a[52:53], v[44:47]// 00000000387C: D3E1002C 1CB2694C
	s_add_u32 m0, 0x200, s50                                   // 000000003884: 807C32FF 00000200
	buffer_load_dword v28, s[8:11], 0 offen lds                // 00000000388C: E0511000 8002001C
	v_mfma_f32_16x16x16_bf16 v[44:47], a[78:79], a[54:55], v[44:47]// 000000003894: D3E1002C 1CB26D4E
	s_add_u32 m0, 0x300, s50                                   // 00000000389C: 807C32FF 00000300
	buffer_load_dword v29, s[8:11], 0 offen lds                // 0000000038A4: E0511000 8002001D
	v_mfma_f32_16x16x16_bf16 v[48:51], a[72:73], a[56:57], v[48:51]// 0000000038AC: D3E10030 1CC27148
	s_add_u32 m0, 0x400, s50                                   // 0000000038B4: 807C32FF 00000400
	buffer_load_dword v30, s[8:11], 0 offen lds                // 0000000038BC: E0511000 8002001E
	v_mfma_f32_16x16x16_bf16 v[48:51], a[74:75], a[58:59], v[48:51]// 0000000038C4: D3E10030 1CC2754A
	s_add_u32 m0, 0x500, s50                                   // 0000000038CC: 807C32FF 00000500
	buffer_load_dword v31, s[8:11], 0 offen lds                // 0000000038D4: E0511000 8002001F
	v_mfma_f32_16x16x16_bf16 v[48:51], a[76:77], a[60:61], v[48:51]// 0000000038DC: D3E10030 1CC2794C
	s_add_u32 m0, 0x600, s50                                   // 0000000038E4: 807C32FF 00000600
	buffer_load_dword v32, s[8:11], 0 offen lds                // 0000000038EC: E0511000 80020020
	v_mfma_f32_16x16x16_bf16 v[48:51], a[78:79], a[62:63], v[48:51]// 0000000038F4: D3E10030 1CC27D4E
	s_add_u32 m0, 0x700, s50                                   // 0000000038FC: 807C32FF 00000700
	buffer_load_dword v33, s[8:11], 0 offen lds                // 000000003904: E0511000 80020021
	s_add_u32 s31, 0x100, s33                                  // 00000000390C: 801F21FF 00000100
	s_cmp_lt_u32 s31, s34                                      // 000000003914: BF0A221F
	s_cselect_b32 s45, s45, 0                                  // 000000003918: 852D802D
	s_add_u32 s8, s45, s8                                      // 00000000391C: 8008082D
	s_addc_u32 s9, 0, s9                                       // 000000003920: 82090980
	s_addk_i32 s33, 0x40                                       // 000000003924: B7210040
	s_cmp_lt_i32 s33, s34                                      // 000000003928: BF042221
	s_cbranch_scc0 label_08EC                                  // 00000000392C: BF840520
	s_waitcnt vmcnt(16) lgkmcnt(0)                             // 000000003930: BF8C4070
	s_barrier                                                  // 000000003934: BF8A0000
	v_mfma_f32_16x16x16_bf16 v[36:39], a[64:65], a[0:1], v[36:39]// 000000003938: D3E10024 1C920140
	s_add_u32 m0, 0, s48                                       // 000000003940: 807C3080
	buffer_load_dword v17, s[4:7], 0 offen lds                 // 000000003944: E0511000 80010011
	v_mfma_f32_16x16x16_bf16 v[36:39], a[66:67], a[2:3], v[36:39]// 00000000394C: D3E10024 1C920542
	s_add_u32 m0, 0x100, s48                                   // 000000003954: 807C30FF 00000100
	buffer_load_dword v18, s[4:7], 0 offen lds                 // 00000000395C: E0511000 80010012
	ds_read_b128 a[32:35], v25                                 // 000000003964: DBFE0000 20000019
	ds_read_b128 a[36:39], v25 offset:64                       // 00000000396C: DBFE0040 24000019
	v_mfma_f32_16x16x16_bf16 v[36:39], a[68:69], a[4:5], v[36:39]// 000000003974: D3E10024 1C920944
	s_add_u32 m0, 0x200, s48                                   // 00000000397C: 807C30FF 00000200
	buffer_load_dword v19, s[4:7], 0 offen lds                 // 000000003984: E0511000 80010013
	v_mfma_f32_16x16x16_bf16 v[36:39], a[70:71], a[6:7], v[36:39]// 00000000398C: D3E10024 1C920D46
	s_add_u32 m0, 0x300, s48                                   // 000000003994: 807C30FF 00000300
	buffer_load_dword v20, s[4:7], 0 offen lds                 // 00000000399C: E0511000 80010014
	ds_read_b128 a[40:43], v25 offset:512                      // 0000000039A4: DBFE0200 28000019
	ds_read_b128 a[44:47], v25 offset:576                      // 0000000039AC: DBFE0240 2C000019
	v_mfma_f32_16x16x16_bf16 v[40:43], a[64:65], a[8:9], v[40:43]// 0000000039B4: D3E10028 1CA21140
	s_add_u32 m0, 0x400, s48                                   // 0000000039BC: 807C30FF 00000400
	buffer_load_dword v21, s[4:7], 0 offen lds                 // 0000000039C4: E0511000 80010015
	v_mfma_f32_16x16x16_bf16 v[40:43], a[66:67], a[10:11], v[40:43]// 0000000039CC: D3E10028 1CA21542
	s_add_u32 m0, 0x500, s48                                   // 0000000039D4: 807C30FF 00000500
	buffer_load_dword v22, s[4:7], 0 offen lds                 // 0000000039DC: E0511000 80010016
	ds_read_b128 a[48:51], v25 offset:1024                     // 0000000039E4: DBFE0400 30000019
	ds_read_b128 a[52:55], v25 offset:1088                     // 0000000039EC: DBFE0440 34000019
	v_mfma_f32_16x16x16_bf16 v[40:43], a[68:69], a[12:13], v[40:43]// 0000000039F4: D3E10028 1CA21944
	s_add_u32 m0, 0x600, s48                                   // 0000000039FC: 807C30FF 00000600
	buffer_load_dword v23, s[4:7], 0 offen lds                 // 000000003A04: E0511000 80010017
	v_mfma_f32_16x16x16_bf16 v[40:43], a[70:71], a[14:15], v[40:43]// 000000003A0C: D3E10028 1CA21D46
	s_add_u32 m0, 0x700, s48                                   // 000000003A14: 807C30FF 00000700
	buffer_load_dword v24, s[4:7], 0 offen lds                 // 000000003A1C: E0511000 80010018
	ds_read_b128 a[56:59], v25 offset:1536                     // 000000003A24: DBFE0600 38000019
	ds_read_b128 a[60:63], v25 offset:1600                     // 000000003A2C: DBFE0640 3C000019
	v_mfma_f32_16x16x16_bf16 v[44:47], a[64:65], a[16:17], v[44:47]// 000000003A34: D3E1002C 1CB22140
	s_add_u32 s31, 0x100, s33                                  // 000000003A3C: 801F21FF 00000100
	s_cmp_lt_u32 s31, s34                                      // 000000003A44: BF0A221F
	s_cselect_b32 s44, s44, 0                                  // 000000003A48: 852C802C
	s_add_u32 m0, 0, s51                                       // 000000003A4C: 807C3380
	buffer_load_dword v26, s[8:11], 0 offen lds                // 000000003A50: E0511000 8002001A
	v_mfma_f32_16x16x16_bf16 v[44:47], a[66:67], a[18:19], v[44:47]// 000000003A58: D3E1002C 1CB22542
	s_add_u32 m0, 0x100, s51                                   // 000000003A60: 807C33FF 00000100
	buffer_load_dword v27, s[8:11], 0 offen lds                // 000000003A68: E0511000 8002001B
	s_add_u32 s4, s44, s4                                      // 000000003A70: 8004042C
	s_addc_u32 s5, 0, s5                                       // 000000003A74: 82050580
	ds_read_b128 a[72:75], v34 offset:24960                    // 000000003A78: DBFE6180 48000022
	ds_read_b128 a[76:79], v34 offset:25024                    // 000000003A80: DBFE61C0 4C000022
	v_mfma_f32_16x16x16_bf16 v[44:47], a[68:69], a[20:21], v[44:47]// 000000003A88: D3E1002C 1CB22944
	s_add_u32 m0, 0x200, s51                                   // 000000003A90: 807C33FF 00000200
	buffer_load_dword v28, s[8:11], 0 offen lds                // 000000003A98: E0511000 8002001C
	v_mfma_f32_16x16x16_bf16 v[44:47], a[70:71], a[22:23], v[44:47]// 000000003AA0: D3E1002C 1CB22D46
	s_add_u32 m0, 0x300, s51                                   // 000000003AA8: 807C33FF 00000300
	buffer_load_dword v29, s[8:11], 0 offen lds                // 000000003AB0: E0511000 8002001D
	v_mfma_f32_16x16x16_bf16 v[48:51], a[64:65], a[24:25], v[48:51]// 000000003AB8: D3E10030 1CC23140
	s_add_u32 m0, 0x400, s51                                   // 000000003AC0: 807C33FF 00000400
	buffer_load_dword v30, s[8:11], 0 offen lds                // 000000003AC8: E0511000 8002001E
	v_mfma_f32_16x16x16_bf16 v[48:51], a[66:67], a[26:27], v[48:51]// 000000003AD0: D3E10030 1CC23542
	s_add_u32 m0, 0x500, s51                                   // 000000003AD8: 807C33FF 00000500
	buffer_load_dword v31, s[8:11], 0 offen lds                // 000000003AE0: E0511000 8002001F
	v_mfma_f32_16x16x16_bf16 v[48:51], a[68:69], a[28:29], v[48:51]// 000000003AE8: D3E10030 1CC23944
	s_add_u32 m0, 0x600, s51                                   // 000000003AF0: 807C33FF 00000600
	buffer_load_dword v32, s[8:11], 0 offen lds                // 000000003AF8: E0511000 80020020
	v_mfma_f32_16x16x16_bf16 v[48:51], a[70:71], a[30:31], v[48:51]// 000000003B00: D3E10030 1CC23D46
	s_add_u32 m0, 0x700, s51                                   // 000000003B08: 807C33FF 00000700
	buffer_load_dword v33, s[8:11], 0 offen lds                // 000000003B10: E0511000 80020021
	s_add_u32 s31, 0x100, s33                                  // 000000003B18: 801F21FF 00000100
	s_cmp_lt_u32 s31, s34                                      // 000000003B20: BF0A221F
	s_cselect_b32 s45, s45, 0                                  // 000000003B24: 852D802D
	s_add_u32 s8, s45, s8                                      // 000000003B28: 8008082D
	s_addc_u32 s9, 0, s9                                       // 000000003B2C: 82090980
	s_addk_i32 s33, 0x40                                       // 000000003B30: B7210040
	s_cmp_lt_i32 s33, s34                                      // 000000003B34: BF042221
	s_cbranch_scc0 label_08EC                                  // 000000003B38: BF84049D
	s_waitcnt vmcnt(16) lgkmcnt(0)                             // 000000003B3C: BF8C4070
	s_barrier                                                  // 000000003B40: BF8A0000
	v_mfma_f32_16x16x16_bf16 v[36:39], a[72:73], a[32:33], v[36:39]// 000000003B44: D3E10024 1C924148
	s_add_u32 m0, 0, s46                                       // 000000003B4C: 807C2E80
	buffer_load_dword v17, s[4:7], 0 offen lds                 // 000000003B50: E0511000 80010011
	v_mfma_f32_16x16x16_bf16 v[36:39], a[74:75], a[34:35], v[36:39]// 000000003B58: D3E10024 1C92454A
	s_add_u32 m0, 0x100, s46                                   // 000000003B60: 807C2EFF 00000100
	buffer_load_dword v18, s[4:7], 0 offen lds                 // 000000003B68: E0511000 80010012
	ds_read_b128 a[0:3], v25 offset:8320                       // 000000003B70: DBFE2080 00000019
	ds_read_b128 a[4:7], v25 offset:8384                       // 000000003B78: DBFE20C0 04000019
	v_mfma_f32_16x16x16_bf16 v[36:39], a[76:77], a[36:37], v[36:39]// 000000003B80: D3E10024 1C92494C
	s_add_u32 m0, 0x200, s46                                   // 000000003B88: 807C2EFF 00000200
	buffer_load_dword v19, s[4:7], 0 offen lds                 // 000000003B90: E0511000 80010013
	v_mfma_f32_16x16x16_bf16 v[36:39], a[78:79], a[38:39], v[36:39]// 000000003B98: D3E10024 1C924D4E
	s_add_u32 m0, 0x300, s46                                   // 000000003BA0: 807C2EFF 00000300
	buffer_load_dword v20, s[4:7], 0 offen lds                 // 000000003BA8: E0511000 80010014
	ds_read_b128 a[8:11], v25 offset:8832                      // 000000003BB0: DBFE2280 08000019
	ds_read_b128 a[12:15], v25 offset:8896                     // 000000003BB8: DBFE22C0 0C000019
	v_mfma_f32_16x16x16_bf16 v[40:43], a[72:73], a[40:41], v[40:43]// 000000003BC0: D3E10028 1CA25148
	s_add_u32 m0, 0x400, s46                                   // 000000003BC8: 807C2EFF 00000400
	buffer_load_dword v21, s[4:7], 0 offen lds                 // 000000003BD0: E0511000 80010015
	v_mfma_f32_16x16x16_bf16 v[40:43], a[74:75], a[42:43], v[40:43]// 000000003BD8: D3E10028 1CA2554A
	s_add_u32 m0, 0x500, s46                                   // 000000003BE0: 807C2EFF 00000500
	buffer_load_dword v22, s[4:7], 0 offen lds                 // 000000003BE8: E0511000 80010016
	ds_read_b128 a[16:19], v25 offset:9344                     // 000000003BF0: DBFE2480 10000019
	ds_read_b128 a[20:23], v25 offset:9408                     // 000000003BF8: DBFE24C0 14000019
	v_mfma_f32_16x16x16_bf16 v[40:43], a[76:77], a[44:45], v[40:43]// 000000003C00: D3E10028 1CA2594C
	s_add_u32 m0, 0x600, s46                                   // 000000003C08: 807C2EFF 00000600
	buffer_load_dword v23, s[4:7], 0 offen lds                 // 000000003C10: E0511000 80010017
	v_mfma_f32_16x16x16_bf16 v[40:43], a[78:79], a[46:47], v[40:43]// 000000003C18: D3E10028 1CA25D4E
	s_add_u32 m0, 0x700, s46                                   // 000000003C20: 807C2EFF 00000700
	buffer_load_dword v24, s[4:7], 0 offen lds                 // 000000003C28: E0511000 80010018
	ds_read_b128 a[24:27], v25 offset:9856                     // 000000003C30: DBFE2680 18000019
	ds_read_b128 a[28:31], v25 offset:9920                     // 000000003C38: DBFE26C0 1C000019
	v_mfma_f32_16x16x16_bf16 v[44:47], a[72:73], a[48:49], v[44:47]// 000000003C40: D3E1002C 1CB26148
	s_add_u32 s31, 0x100, s33                                  // 000000003C48: 801F21FF 00000100
	s_cmp_lt_u32 s31, s34                                      // 000000003C50: BF0A221F
	s_cselect_b32 s44, s44, 0                                  // 000000003C54: 852C802C
	s_add_u32 m0, 0, s49                                       // 000000003C58: 807C3180
	buffer_load_dword v26, s[8:11], 0 offen lds                // 000000003C5C: E0511000 8002001A
	v_mfma_f32_16x16x16_bf16 v[44:47], a[74:75], a[50:51], v[44:47]// 000000003C64: D3E1002C 1CB2654A
	s_add_u32 m0, 0x100, s49                                   // 000000003C6C: 807C31FF 00000100
	buffer_load_dword v27, s[8:11], 0 offen lds                // 000000003C74: E0511000 8002001B
	s_add_u32 s4, s44, s4                                      // 000000003C7C: 8004042C
	s_addc_u32 s5, 0, s5                                       // 000000003C80: 82050580
	ds_read_b128 a[64:67], v34 offset:33280                    // 000000003C84: DBFE8200 40000022
	ds_read_b128 a[68:71], v34 offset:33344                    // 000000003C8C: DBFE8240 44000022
	v_mfma_f32_16x16x16_bf16 v[44:47], a[76:77], a[52:53], v[44:47]// 000000003C94: D3E1002C 1CB2694C
	s_add_u32 m0, 0x200, s49                                   // 000000003C9C: 807C31FF 00000200
	buffer_load_dword v28, s[8:11], 0 offen lds                // 000000003CA4: E0511000 8002001C
	v_mfma_f32_16x16x16_bf16 v[44:47], a[78:79], a[54:55], v[44:47]// 000000003CAC: D3E1002C 1CB26D4E
	s_add_u32 m0, 0x300, s49                                   // 000000003CB4: 807C31FF 00000300
	buffer_load_dword v29, s[8:11], 0 offen lds                // 000000003CBC: E0511000 8002001D
	v_mfma_f32_16x16x16_bf16 v[48:51], a[72:73], a[56:57], v[48:51]// 000000003CC4: D3E10030 1CC27148
	s_add_u32 m0, 0x400, s49                                   // 000000003CCC: 807C31FF 00000400
	buffer_load_dword v30, s[8:11], 0 offen lds                // 000000003CD4: E0511000 8002001E
	v_mfma_f32_16x16x16_bf16 v[48:51], a[74:75], a[58:59], v[48:51]// 000000003CDC: D3E10030 1CC2754A
	s_add_u32 m0, 0x500, s49                                   // 000000003CE4: 807C31FF 00000500
	buffer_load_dword v31, s[8:11], 0 offen lds                // 000000003CEC: E0511000 8002001F
	v_mfma_f32_16x16x16_bf16 v[48:51], a[76:77], a[60:61], v[48:51]// 000000003CF4: D3E10030 1CC2794C
	s_add_u32 m0, 0x600, s49                                   // 000000003CFC: 807C31FF 00000600
	buffer_load_dword v32, s[8:11], 0 offen lds                // 000000003D04: E0511000 80020020
	v_mfma_f32_16x16x16_bf16 v[48:51], a[78:79], a[62:63], v[48:51]// 000000003D0C: D3E10030 1CC27D4E
	s_add_u32 m0, 0x700, s49                                   // 000000003D14: 807C31FF 00000700
	buffer_load_dword v33, s[8:11], 0 offen lds                // 000000003D1C: E0511000 80020021
	s_add_u32 s31, 0x100, s33                                  // 000000003D24: 801F21FF 00000100
	s_cmp_lt_u32 s31, s34                                      // 000000003D2C: BF0A221F
	s_cselect_b32 s45, s45, 0                                  // 000000003D30: 852D802D
	s_add_u32 s8, s45, s8                                      // 000000003D34: 8008082D
	s_addc_u32 s9, 0, s9                                       // 000000003D38: 82090980
	s_addk_i32 s33, 0x40                                       // 000000003D3C: B7210040
	s_cmp_lt_i32 s33, s34                                      // 000000003D40: BF042221
	s_cbranch_scc0 label_08EC                                  // 000000003D44: BF84041A
	s_waitcnt vmcnt(16) lgkmcnt(0)                             // 000000003D48: BF8C4070
	s_barrier                                                  // 000000003D4C: BF8A0000
	v_mfma_f32_16x16x16_bf16 v[36:39], a[64:65], a[0:1], v[36:39]// 000000003D50: D3E10024 1C920140
	s_add_u32 m0, 0, s47                                       // 000000003D58: 807C2F80
	buffer_load_dword v17, s[4:7], 0 offen lds                 // 000000003D5C: E0511000 80010011
	v_mfma_f32_16x16x16_bf16 v[36:39], a[66:67], a[2:3], v[36:39]// 000000003D64: D3E10024 1C920542
	s_add_u32 m0, 0x100, s47                                   // 000000003D6C: 807C2FFF 00000100
	buffer_load_dword v18, s[4:7], 0 offen lds                 // 000000003D74: E0511000 80010012
	ds_read_b128 a[32:35], v25 offset:16640                    // 000000003D7C: DBFE4100 20000019
	ds_read_b128 a[36:39], v25 offset:16704                    // 000000003D84: DBFE4140 24000019
	v_mfma_f32_16x16x16_bf16 v[36:39], a[68:69], a[4:5], v[36:39]// 000000003D8C: D3E10024 1C920944
	s_add_u32 m0, 0x200, s47                                   // 000000003D94: 807C2FFF 00000200
	buffer_load_dword v19, s[4:7], 0 offen lds                 // 000000003D9C: E0511000 80010013
	v_mfma_f32_16x16x16_bf16 v[36:39], a[70:71], a[6:7], v[36:39]// 000000003DA4: D3E10024 1C920D46
	s_add_u32 m0, 0x300, s47                                   // 000000003DAC: 807C2FFF 00000300
	buffer_load_dword v20, s[4:7], 0 offen lds                 // 000000003DB4: E0511000 80010014
	ds_read_b128 a[40:43], v25 offset:17152                    // 000000003DBC: DBFE4300 28000019
	ds_read_b128 a[44:47], v25 offset:17216                    // 000000003DC4: DBFE4340 2C000019
	v_mfma_f32_16x16x16_bf16 v[40:43], a[64:65], a[8:9], v[40:43]// 000000003DCC: D3E10028 1CA21140
	s_add_u32 m0, 0x400, s47                                   // 000000003DD4: 807C2FFF 00000400
	buffer_load_dword v21, s[4:7], 0 offen lds                 // 000000003DDC: E0511000 80010015
	v_mfma_f32_16x16x16_bf16 v[40:43], a[66:67], a[10:11], v[40:43]// 000000003DE4: D3E10028 1CA21542
	s_add_u32 m0, 0x500, s47                                   // 000000003DEC: 807C2FFF 00000500
	buffer_load_dword v22, s[4:7], 0 offen lds                 // 000000003DF4: E0511000 80010016
	ds_read_b128 a[48:51], v25 offset:17664                    // 000000003DFC: DBFE4500 30000019
	ds_read_b128 a[52:55], v25 offset:17728                    // 000000003E04: DBFE4540 34000019
	v_mfma_f32_16x16x16_bf16 v[40:43], a[68:69], a[12:13], v[40:43]// 000000003E0C: D3E10028 1CA21944
	s_add_u32 m0, 0x600, s47                                   // 000000003E14: 807C2FFF 00000600
	buffer_load_dword v23, s[4:7], 0 offen lds                 // 000000003E1C: E0511000 80010017
	v_mfma_f32_16x16x16_bf16 v[40:43], a[70:71], a[14:15], v[40:43]// 000000003E24: D3E10028 1CA21D46
	s_add_u32 m0, 0x700, s47                                   // 000000003E2C: 807C2FFF 00000700
	buffer_load_dword v24, s[4:7], 0 offen lds                 // 000000003E34: E0511000 80010018
	ds_read_b128 a[56:59], v25 offset:18176                    // 000000003E3C: DBFE4700 38000019
	ds_read_b128 a[60:63], v25 offset:18240                    // 000000003E44: DBFE4740 3C000019
	v_mfma_f32_16x16x16_bf16 v[44:47], a[64:65], a[16:17], v[44:47]// 000000003E4C: D3E1002C 1CB22140
	s_add_u32 s31, 0x100, s33                                  // 000000003E54: 801F21FF 00000100
	s_cmp_lt_u32 s31, s34                                      // 000000003E5C: BF0A221F
	s_cselect_b32 s44, s44, 0                                  // 000000003E60: 852C802C
	s_add_u32 m0, 0, s50                                       // 000000003E64: 807C3280
	buffer_load_dword v26, s[8:11], 0 offen lds                // 000000003E68: E0511000 8002001A
	v_mfma_f32_16x16x16_bf16 v[44:47], a[66:67], a[18:19], v[44:47]// 000000003E70: D3E1002C 1CB22542
	s_add_u32 m0, 0x100, s50                                   // 000000003E78: 807C32FF 00000100
	buffer_load_dword v27, s[8:11], 0 offen lds                // 000000003E80: E0511000 8002001B
	s_add_u32 s4, s44, s4                                      // 000000003E88: 8004042C
	s_addc_u32 s5, 0, s5                                       // 000000003E8C: 82050580
	ds_read_b128 a[72:75], v34 offset:41600                    // 000000003E90: DBFEA280 48000022
	ds_read_b128 a[76:79], v34 offset:41664                    // 000000003E98: DBFEA2C0 4C000022
	v_mfma_f32_16x16x16_bf16 v[44:47], a[68:69], a[20:21], v[44:47]// 000000003EA0: D3E1002C 1CB22944
	s_add_u32 m0, 0x200, s50                                   // 000000003EA8: 807C32FF 00000200
	buffer_load_dword v28, s[8:11], 0 offen lds                // 000000003EB0: E0511000 8002001C
	v_mfma_f32_16x16x16_bf16 v[44:47], a[70:71], a[22:23], v[44:47]// 000000003EB8: D3E1002C 1CB22D46
	s_add_u32 m0, 0x300, s50                                   // 000000003EC0: 807C32FF 00000300
	buffer_load_dword v29, s[8:11], 0 offen lds                // 000000003EC8: E0511000 8002001D
	v_mfma_f32_16x16x16_bf16 v[48:51], a[64:65], a[24:25], v[48:51]// 000000003ED0: D3E10030 1CC23140
	s_add_u32 m0, 0x400, s50                                   // 000000003ED8: 807C32FF 00000400
	buffer_load_dword v30, s[8:11], 0 offen lds                // 000000003EE0: E0511000 8002001E
	v_mfma_f32_16x16x16_bf16 v[48:51], a[66:67], a[26:27], v[48:51]// 000000003EE8: D3E10030 1CC23542
	s_add_u32 m0, 0x500, s50                                   // 000000003EF0: 807C32FF 00000500
	buffer_load_dword v31, s[8:11], 0 offen lds                // 000000003EF8: E0511000 8002001F
	v_mfma_f32_16x16x16_bf16 v[48:51], a[68:69], a[28:29], v[48:51]// 000000003F00: D3E10030 1CC23944
	s_add_u32 m0, 0x600, s50                                   // 000000003F08: 807C32FF 00000600
	buffer_load_dword v32, s[8:11], 0 offen lds                // 000000003F10: E0511000 80020020
	v_mfma_f32_16x16x16_bf16 v[48:51], a[70:71], a[30:31], v[48:51]// 000000003F18: D3E10030 1CC23D46
	s_add_u32 m0, 0x700, s50                                   // 000000003F20: 807C32FF 00000700
	buffer_load_dword v33, s[8:11], 0 offen lds                // 000000003F28: E0511000 80020021
	s_add_u32 s31, 0x100, s33                                  // 000000003F30: 801F21FF 00000100
	s_cmp_lt_u32 s31, s34                                      // 000000003F38: BF0A221F
	s_cselect_b32 s45, s45, 0                                  // 000000003F3C: 852D802D
	s_add_u32 s8, s45, s8                                      // 000000003F40: 8008082D
	s_addc_u32 s9, 0, s9                                       // 000000003F44: 82090980
	s_addk_i32 s33, 0x40                                       // 000000003F48: B7210040
	s_cmp_lt_i32 s33, s34                                      // 000000003F4C: BF042221
	s_cbranch_scc0 label_08EC                                  // 000000003F50: BF840397
	s_waitcnt vmcnt(16) lgkmcnt(0)                             // 000000003F54: BF8C4070
	s_barrier                                                  // 000000003F58: BF8A0000
	v_mfma_f32_16x16x16_bf16 v[36:39], a[72:73], a[32:33], v[36:39]// 000000003F5C: D3E10024 1C924148
	s_add_u32 m0, 0, s48                                       // 000000003F64: 807C3080
	buffer_load_dword v17, s[4:7], 0 offen lds                 // 000000003F68: E0511000 80010011
	v_mfma_f32_16x16x16_bf16 v[36:39], a[74:75], a[34:35], v[36:39]// 000000003F70: D3E10024 1C92454A
	s_add_u32 m0, 0x100, s48                                   // 000000003F78: 807C30FF 00000100
	buffer_load_dword v18, s[4:7], 0 offen lds                 // 000000003F80: E0511000 80010012
	ds_read_b128 a[0:3], v25                                   // 000000003F88: DBFE0000 00000019
	ds_read_b128 a[4:7], v25 offset:64                         // 000000003F90: DBFE0040 04000019
	v_mfma_f32_16x16x16_bf16 v[36:39], a[76:77], a[36:37], v[36:39]// 000000003F98: D3E10024 1C92494C
	s_add_u32 m0, 0x200, s48                                   // 000000003FA0: 807C30FF 00000200
	buffer_load_dword v19, s[4:7], 0 offen lds                 // 000000003FA8: E0511000 80010013
	v_mfma_f32_16x16x16_bf16 v[36:39], a[78:79], a[38:39], v[36:39]// 000000003FB0: D3E10024 1C924D4E
	s_add_u32 m0, 0x300, s48                                   // 000000003FB8: 807C30FF 00000300
	buffer_load_dword v20, s[4:7], 0 offen lds                 // 000000003FC0: E0511000 80010014
	ds_read_b128 a[8:11], v25 offset:512                       // 000000003FC8: DBFE0200 08000019
	ds_read_b128 a[12:15], v25 offset:576                      // 000000003FD0: DBFE0240 0C000019
	v_mfma_f32_16x16x16_bf16 v[40:43], a[72:73], a[40:41], v[40:43]// 000000003FD8: D3E10028 1CA25148
	s_add_u32 m0, 0x400, s48                                   // 000000003FE0: 807C30FF 00000400
	buffer_load_dword v21, s[4:7], 0 offen lds                 // 000000003FE8: E0511000 80010015
	v_mfma_f32_16x16x16_bf16 v[40:43], a[74:75], a[42:43], v[40:43]// 000000003FF0: D3E10028 1CA2554A
	s_add_u32 m0, 0x500, s48                                   // 000000003FF8: 807C30FF 00000500
	buffer_load_dword v22, s[4:7], 0 offen lds                 // 000000004000: E0511000 80010016
	ds_read_b128 a[16:19], v25 offset:1024                     // 000000004008: DBFE0400 10000019
	ds_read_b128 a[20:23], v25 offset:1088                     // 000000004010: DBFE0440 14000019
	v_mfma_f32_16x16x16_bf16 v[40:43], a[76:77], a[44:45], v[40:43]// 000000004018: D3E10028 1CA2594C
	s_add_u32 m0, 0x600, s48                                   // 000000004020: 807C30FF 00000600
	buffer_load_dword v23, s[4:7], 0 offen lds                 // 000000004028: E0511000 80010017
	v_mfma_f32_16x16x16_bf16 v[40:43], a[78:79], a[46:47], v[40:43]// 000000004030: D3E10028 1CA25D4E
	s_add_u32 m0, 0x700, s48                                   // 000000004038: 807C30FF 00000700
	buffer_load_dword v24, s[4:7], 0 offen lds                 // 000000004040: E0511000 80010018
	ds_read_b128 a[24:27], v25 offset:1536                     // 000000004048: DBFE0600 18000019
	ds_read_b128 a[28:31], v25 offset:1600                     // 000000004050: DBFE0640 1C000019
	v_mfma_f32_16x16x16_bf16 v[44:47], a[72:73], a[48:49], v[44:47]// 000000004058: D3E1002C 1CB26148
	s_add_u32 s31, 0x100, s33                                  // 000000004060: 801F21FF 00000100
	s_cmp_lt_u32 s31, s34                                      // 000000004068: BF0A221F
	s_cselect_b32 s44, s44, 0                                  // 00000000406C: 852C802C
	s_add_u32 m0, 0, s51                                       // 000000004070: 807C3380
	buffer_load_dword v26, s[8:11], 0 offen lds                // 000000004074: E0511000 8002001A
	v_mfma_f32_16x16x16_bf16 v[44:47], a[74:75], a[50:51], v[44:47]// 00000000407C: D3E1002C 1CB2654A
	s_add_u32 m0, 0x100, s51                                   // 000000004084: 807C33FF 00000100
	buffer_load_dword v27, s[8:11], 0 offen lds                // 00000000408C: E0511000 8002001B
	s_add_u32 s4, s44, s4                                      // 000000004094: 8004042C
	s_addc_u32 s5, 0, s5                                       // 000000004098: 82050580
	ds_read_b128 a[64:67], v34 offset:24960                    // 00000000409C: DBFE6180 40000022
	ds_read_b128 a[68:71], v34 offset:25024                    // 0000000040A4: DBFE61C0 44000022
	v_mfma_f32_16x16x16_bf16 v[44:47], a[76:77], a[52:53], v[44:47]// 0000000040AC: D3E1002C 1CB2694C
	s_add_u32 m0, 0x200, s51                                   // 0000000040B4: 807C33FF 00000200
	buffer_load_dword v28, s[8:11], 0 offen lds                // 0000000040BC: E0511000 8002001C
	v_mfma_f32_16x16x16_bf16 v[44:47], a[78:79], a[54:55], v[44:47]// 0000000040C4: D3E1002C 1CB26D4E
	s_add_u32 m0, 0x300, s51                                   // 0000000040CC: 807C33FF 00000300
	buffer_load_dword v29, s[8:11], 0 offen lds                // 0000000040D4: E0511000 8002001D
	v_mfma_f32_16x16x16_bf16 v[48:51], a[72:73], a[56:57], v[48:51]// 0000000040DC: D3E10030 1CC27148
	s_add_u32 m0, 0x400, s51                                   // 0000000040E4: 807C33FF 00000400
	buffer_load_dword v30, s[8:11], 0 offen lds                // 0000000040EC: E0511000 8002001E
	v_mfma_f32_16x16x16_bf16 v[48:51], a[74:75], a[58:59], v[48:51]// 0000000040F4: D3E10030 1CC2754A
	s_add_u32 m0, 0x500, s51                                   // 0000000040FC: 807C33FF 00000500
	buffer_load_dword v31, s[8:11], 0 offen lds                // 000000004104: E0511000 8002001F
	v_mfma_f32_16x16x16_bf16 v[48:51], a[76:77], a[60:61], v[48:51]// 00000000410C: D3E10030 1CC2794C
	s_add_u32 m0, 0x600, s51                                   // 000000004114: 807C33FF 00000600
	buffer_load_dword v32, s[8:11], 0 offen lds                // 00000000411C: E0511000 80020020
	v_mfma_f32_16x16x16_bf16 v[48:51], a[78:79], a[62:63], v[48:51]// 000000004124: D3E10030 1CC27D4E
	s_add_u32 m0, 0x700, s51                                   // 00000000412C: 807C33FF 00000700
	buffer_load_dword v33, s[8:11], 0 offen lds                // 000000004134: E0511000 80020021
	s_add_u32 s31, 0x100, s33                                  // 00000000413C: 801F21FF 00000100
	s_cmp_lt_u32 s31, s34                                      // 000000004144: BF0A221F
	s_cselect_b32 s45, s45, 0                                  // 000000004148: 852D802D
	s_add_u32 s8, s45, s8                                      // 00000000414C: 8008082D
	s_addc_u32 s9, 0, s9                                       // 000000004150: 82090980
	s_addk_i32 s33, 0x40                                       // 000000004154: B7210040
	s_cmp_lt_i32 s33, s34                                      // 000000004158: BF042221
	s_cbranch_scc0 label_08EC                                  // 00000000415C: BF840314
	s_branch label_02C6                                        // 000000004160: BF82FCED

0000000000004164 <label_05D9>:
	s_waitcnt vmcnt(16) lgkmcnt(0)                             // 000000004164: BF8C4070
	s_barrier                                                  // 000000004168: BF8A0000
	v_mfma_f32_16x16x16_bf16 v[36:39], a[64:65], a[0:1], v[36:39]// 00000000416C: D3E10024 1C920140
	s_add_u32 m0, 0, s46                                       // 000000004174: 807C2E80
	buffer_load_dword v17, s[4:7], 0 offen lds                 // 000000004178: E0511000 80010011
	ds_read_b128 a[32:35], v25 offset:8320                     // 000000004180: DBFE2080 20000019
	ds_read_b128 a[36:39], v25 offset:8384                     // 000000004188: DBFE20C0 24000019
	v_mfma_f32_16x16x16_bf16 v[36:39], a[66:67], a[2:3], v[36:39]// 000000004190: D3E10024 1C920542
	s_add_u32 m0, 0x100, s46                                   // 000000004198: 807C2EFF 00000100
	buffer_load_dword v18, s[4:7], 0 offen lds                 // 0000000041A0: E0511000 80010012
	v_mfma_f32_16x16x16_bf16 v[36:39], a[68:69], a[4:5], v[36:39]// 0000000041A8: D3E10024 1C920944
	s_add_u32 m0, 0x200, s46                                   // 0000000041B0: 807C2EFF 00000200
	buffer_load_dword v19, s[4:7], 0 offen lds                 // 0000000041B8: E0511000 80010013
	ds_read_b128 a[40:43], v25 offset:8832                     // 0000000041C0: DBFE2280 28000019
	ds_read_b128 a[44:47], v25 offset:8896                     // 0000000041C8: DBFE22C0 2C000019
	v_mfma_f32_16x16x16_bf16 v[36:39], a[70:71], a[6:7], v[36:39]// 0000000041D0: D3E10024 1C920D46
	s_add_u32 m0, 0x300, s46                                   // 0000000041D8: 807C2EFF 00000300
	buffer_load_dword v20, s[4:7], 0 offen lds                 // 0000000041E0: E0511000 80010014
	v_mfma_f32_16x16x16_bf16 v[40:43], a[64:65], a[8:9], v[40:43]// 0000000041E8: D3E10028 1CA21140
	s_add_u32 m0, 0x400, s46                                   // 0000000041F0: 807C2EFF 00000400
	buffer_load_dword v21, s[4:7], 0 offen lds                 // 0000000041F8: E0511000 80010015
	ds_read_b128 a[48:51], v25 offset:9344                     // 000000004200: DBFE2480 30000019
	ds_read_b128 a[52:55], v25 offset:9408                     // 000000004208: DBFE24C0 34000019
	v_mfma_f32_16x16x16_bf16 v[40:43], a[66:67], a[10:11], v[40:43]// 000000004210: D3E10028 1CA21542
	s_add_u32 m0, 0x500, s46                                   // 000000004218: 807C2EFF 00000500
	buffer_load_dword v22, s[4:7], 0 offen lds                 // 000000004220: E0511000 80010016
	v_mfma_f32_16x16x16_bf16 v[40:43], a[68:69], a[12:13], v[40:43]// 000000004228: D3E10028 1CA21944
	s_add_u32 m0, 0x600, s46                                   // 000000004230: 807C2EFF 00000600
	buffer_load_dword v23, s[4:7], 0 offen lds                 // 000000004238: E0511000 80010017
	ds_read_b128 a[56:59], v25 offset:9856                     // 000000004240: DBFE2680 38000019
	ds_read_b128 a[60:63], v25 offset:9920                     // 000000004248: DBFE26C0 3C000019
	v_mfma_f32_16x16x16_bf16 v[40:43], a[70:71], a[14:15], v[40:43]// 000000004250: D3E10028 1CA21D46
	s_add_u32 m0, 0x700, s46                                   // 000000004258: 807C2EFF 00000700
	buffer_load_dword v24, s[4:7], 0 offen lds                 // 000000004260: E0511000 80010018
	v_mfma_f32_16x16x16_bf16 v[44:47], a[64:65], a[16:17], v[44:47]// 000000004268: D3E1002C 1CB22140
	s_add_u32 s31, 0x100, s33                                  // 000000004270: 801F21FF 00000100
	s_cmp_lt_u32 s31, s34                                      // 000000004278: BF0A221F
	s_cselect_b32 s44, s44, 0                                  // 00000000427C: 852C802C
	s_add_u32 m0, 0, s49                                       // 000000004280: 807C3180
	buffer_load_dword v26, s[8:11], 0 offen lds                // 000000004284: E0511000 8002001A
	s_add_u32 s4, s44, s4                                      // 00000000428C: 8004042C
	s_addc_u32 s5, 0, s5                                       // 000000004290: 82050580
	ds_read_b128 a[72:75], v34 offset:33280                    // 000000004294: DBFE8200 48000022
	ds_read_b128 a[76:79], v34 offset:33344                    // 00000000429C: DBFE8240 4C000022
	v_mfma_f32_16x16x16_bf16 v[44:47], a[66:67], a[18:19], v[44:47]// 0000000042A4: D3E1002C 1CB22542
	s_add_u32 m0, 0x100, s49                                   // 0000000042AC: 807C31FF 00000100
	buffer_load_dword v27, s[8:11], 0 offen lds                // 0000000042B4: E0511000 8002001B
	v_mfma_f32_16x16x16_bf16 v[44:47], a[68:69], a[20:21], v[44:47]// 0000000042BC: D3E1002C 1CB22944
	s_add_u32 m0, 0x200, s49                                   // 0000000042C4: 807C31FF 00000200
	buffer_load_dword v28, s[8:11], 0 offen lds                // 0000000042CC: E0511000 8002001C
	v_mfma_f32_16x16x16_bf16 v[44:47], a[70:71], a[22:23], v[44:47]// 0000000042D4: D3E1002C 1CB22D46
	s_add_u32 m0, 0x300, s49                                   // 0000000042DC: 807C31FF 00000300
	buffer_load_dword v29, s[8:11], 0 offen lds                // 0000000042E4: E0511000 8002001D
	v_mfma_f32_16x16x16_bf16 v[48:51], a[64:65], a[24:25], v[48:51]// 0000000042EC: D3E10030 1CC23140
	s_add_u32 m0, 0x400, s49                                   // 0000000042F4: 807C31FF 00000400
	buffer_load_dword v30, s[8:11], 0 offen lds                // 0000000042FC: E0511000 8002001E
	v_mfma_f32_16x16x16_bf16 v[48:51], a[66:67], a[26:27], v[48:51]// 000000004304: D3E10030 1CC23542
	s_add_u32 m0, 0x500, s49                                   // 00000000430C: 807C31FF 00000500
	buffer_load_dword v31, s[8:11], 0 offen lds                // 000000004314: E0511000 8002001F
	v_mfma_f32_16x16x16_bf16 v[48:51], a[68:69], a[28:29], v[48:51]// 00000000431C: D3E10030 1CC23944
	s_add_u32 m0, 0x600, s49                                   // 000000004324: 807C31FF 00000600
	buffer_load_dword v32, s[8:11], 0 offen lds                // 00000000432C: E0511000 80020020
	v_mfma_f32_16x16x16_bf16 v[48:51], a[70:71], a[30:31], v[48:51]// 000000004334: D3E10030 1CC23D46
	s_add_u32 m0, 0x700, s49                                   // 00000000433C: 807C31FF 00000700
	buffer_load_dword v33, s[8:11], 0 offen lds                // 000000004344: E0511000 80020021
	s_add_u32 s31, 0x100, s33                                  // 00000000434C: 801F21FF 00000100
	s_cmp_lt_u32 s31, s34                                      // 000000004354: BF0A221F
	s_cselect_b32 s45, s45, 0                                  // 000000004358: 852D802D
	s_add_u32 s8, s45, s8                                      // 00000000435C: 8008082D
	s_addc_u32 s9, 0, s9                                       // 000000004360: 82090980
	s_addk_i32 s33, 0x40                                       // 000000004364: B7210040
	s_cmp_lt_i32 s33, s34                                      // 000000004368: BF042221
	s_cbranch_scc0 label_08EC                                  // 00000000436C: BF840290
	s_waitcnt vmcnt(16) lgkmcnt(0)                             // 000000004370: BF8C4070
	s_barrier                                                  // 000000004374: BF8A0000
	v_mfma_f32_16x16x16_bf16 v[36:39], a[72:73], a[32:33], v[36:39]// 000000004378: D3E10024 1C924148
	s_add_u32 m0, 0, s47                                       // 000000004380: 807C2F80
	buffer_load_dword v17, s[4:7], 0 offen lds                 // 000000004384: E0511000 80010011
	ds_read_b128 a[0:3], v25 offset:16640                      // 00000000438C: DBFE4100 00000019
	ds_read_b128 a[4:7], v25 offset:16704                      // 000000004394: DBFE4140 04000019
	v_mfma_f32_16x16x16_bf16 v[36:39], a[74:75], a[34:35], v[36:39]// 00000000439C: D3E10024 1C92454A
	s_add_u32 m0, 0x100, s47                                   // 0000000043A4: 807C2FFF 00000100
	buffer_load_dword v18, s[4:7], 0 offen lds                 // 0000000043AC: E0511000 80010012
	v_mfma_f32_16x16x16_bf16 v[36:39], a[76:77], a[36:37], v[36:39]// 0000000043B4: D3E10024 1C92494C
	s_add_u32 m0, 0x200, s47                                   // 0000000043BC: 807C2FFF 00000200
	buffer_load_dword v19, s[4:7], 0 offen lds                 // 0000000043C4: E0511000 80010013
	ds_read_b128 a[8:11], v25 offset:17152                     // 0000000043CC: DBFE4300 08000019
	ds_read_b128 a[12:15], v25 offset:17216                    // 0000000043D4: DBFE4340 0C000019
	v_mfma_f32_16x16x16_bf16 v[36:39], a[78:79], a[38:39], v[36:39]// 0000000043DC: D3E10024 1C924D4E
	s_add_u32 m0, 0x300, s47                                   // 0000000043E4: 807C2FFF 00000300
	buffer_load_dword v20, s[4:7], 0 offen lds                 // 0000000043EC: E0511000 80010014
	v_mfma_f32_16x16x16_bf16 v[40:43], a[72:73], a[40:41], v[40:43]// 0000000043F4: D3E10028 1CA25148
	s_add_u32 m0, 0x400, s47                                   // 0000000043FC: 807C2FFF 00000400
	buffer_load_dword v21, s[4:7], 0 offen lds                 // 000000004404: E0511000 80010015
	ds_read_b128 a[16:19], v25 offset:17664                    // 00000000440C: DBFE4500 10000019
	ds_read_b128 a[20:23], v25 offset:17728                    // 000000004414: DBFE4540 14000019
	v_mfma_f32_16x16x16_bf16 v[40:43], a[74:75], a[42:43], v[40:43]// 00000000441C: D3E10028 1CA2554A
	s_add_u32 m0, 0x500, s47                                   // 000000004424: 807C2FFF 00000500
	buffer_load_dword v22, s[4:7], 0 offen lds                 // 00000000442C: E0511000 80010016
	v_mfma_f32_16x16x16_bf16 v[40:43], a[76:77], a[44:45], v[40:43]// 000000004434: D3E10028 1CA2594C
	s_add_u32 m0, 0x600, s47                                   // 00000000443C: 807C2FFF 00000600
	buffer_load_dword v23, s[4:7], 0 offen lds                 // 000000004444: E0511000 80010017
	ds_read_b128 a[24:27], v25 offset:18176                    // 00000000444C: DBFE4700 18000019
	ds_read_b128 a[28:31], v25 offset:18240                    // 000000004454: DBFE4740 1C000019
	v_mfma_f32_16x16x16_bf16 v[40:43], a[78:79], a[46:47], v[40:43]// 00000000445C: D3E10028 1CA25D4E
	s_add_u32 m0, 0x700, s47                                   // 000000004464: 807C2FFF 00000700
	buffer_load_dword v24, s[4:7], 0 offen lds                 // 00000000446C: E0511000 80010018
	v_mfma_f32_16x16x16_bf16 v[44:47], a[72:73], a[48:49], v[44:47]// 000000004474: D3E1002C 1CB26148
	s_add_u32 s31, 0x100, s33                                  // 00000000447C: 801F21FF 00000100
	s_cmp_lt_u32 s31, s34                                      // 000000004484: BF0A221F
	s_cselect_b32 s44, s44, 0                                  // 000000004488: 852C802C
	s_add_u32 m0, 0, s50                                       // 00000000448C: 807C3280
	buffer_load_dword v26, s[8:11], 0 offen lds                // 000000004490: E0511000 8002001A
	s_add_u32 s4, s44, s4                                      // 000000004498: 8004042C
	s_addc_u32 s5, 0, s5                                       // 00000000449C: 82050580
	ds_read_b128 a[64:67], v34 offset:41600                    // 0000000044A0: DBFEA280 40000022
	ds_read_b128 a[68:71], v34 offset:41664                    // 0000000044A8: DBFEA2C0 44000022
	v_mfma_f32_16x16x16_bf16 v[44:47], a[74:75], a[50:51], v[44:47]// 0000000044B0: D3E1002C 1CB2654A
	s_add_u32 m0, 0x100, s50                                   // 0000000044B8: 807C32FF 00000100
	buffer_load_dword v27, s[8:11], 0 offen lds                // 0000000044C0: E0511000 8002001B
	v_mfma_f32_16x16x16_bf16 v[44:47], a[76:77], a[52:53], v[44:47]// 0000000044C8: D3E1002C 1CB2694C
	s_add_u32 m0, 0x200, s50                                   // 0000000044D0: 807C32FF 00000200
	buffer_load_dword v28, s[8:11], 0 offen lds                // 0000000044D8: E0511000 8002001C
	v_mfma_f32_16x16x16_bf16 v[44:47], a[78:79], a[54:55], v[44:47]// 0000000044E0: D3E1002C 1CB26D4E
	s_add_u32 m0, 0x300, s50                                   // 0000000044E8: 807C32FF 00000300
	buffer_load_dword v29, s[8:11], 0 offen lds                // 0000000044F0: E0511000 8002001D
	v_mfma_f32_16x16x16_bf16 v[48:51], a[72:73], a[56:57], v[48:51]// 0000000044F8: D3E10030 1CC27148
	s_add_u32 m0, 0x400, s50                                   // 000000004500: 807C32FF 00000400
	buffer_load_dword v30, s[8:11], 0 offen lds                // 000000004508: E0511000 8002001E
	v_mfma_f32_16x16x16_bf16 v[48:51], a[74:75], a[58:59], v[48:51]// 000000004510: D3E10030 1CC2754A
	s_add_u32 m0, 0x500, s50                                   // 000000004518: 807C32FF 00000500
	buffer_load_dword v31, s[8:11], 0 offen lds                // 000000004520: E0511000 8002001F
	v_mfma_f32_16x16x16_bf16 v[48:51], a[76:77], a[60:61], v[48:51]// 000000004528: D3E10030 1CC2794C
	s_add_u32 m0, 0x600, s50                                   // 000000004530: 807C32FF 00000600
	buffer_load_dword v32, s[8:11], 0 offen lds                // 000000004538: E0511000 80020020
	v_mfma_f32_16x16x16_bf16 v[48:51], a[78:79], a[62:63], v[48:51]// 000000004540: D3E10030 1CC27D4E
	s_add_u32 m0, 0x700, s50                                   // 000000004548: 807C32FF 00000700
	buffer_load_dword v33, s[8:11], 0 offen lds                // 000000004550: E0511000 80020021
	s_add_u32 s31, 0x100, s33                                  // 000000004558: 801F21FF 00000100
	s_cmp_lt_u32 s31, s34                                      // 000000004560: BF0A221F
	s_cselect_b32 s45, s45, 0                                  // 000000004564: 852D802D
	s_add_u32 s8, s45, s8                                      // 000000004568: 8008082D
	s_addc_u32 s9, 0, s9                                       // 00000000456C: 82090980
	s_addk_i32 s33, 0x40                                       // 000000004570: B7210040
	s_cmp_lt_i32 s33, s34                                      // 000000004574: BF042221
	s_cbranch_scc0 label_08EC                                  // 000000004578: BF84020D
	s_waitcnt vmcnt(16) lgkmcnt(0)                             // 00000000457C: BF8C4070
	s_barrier                                                  // 000000004580: BF8A0000
	v_mfma_f32_16x16x16_bf16 v[36:39], a[64:65], a[0:1], v[36:39]// 000000004584: D3E10024 1C920140
	s_add_u32 m0, 0, s48                                       // 00000000458C: 807C3080
	buffer_load_dword v17, s[4:7], 0 offen lds                 // 000000004590: E0511000 80010011
	ds_read_b128 a[32:35], v25                                 // 000000004598: DBFE0000 20000019
	ds_read_b128 a[36:39], v25 offset:64                       // 0000000045A0: DBFE0040 24000019
	v_mfma_f32_16x16x16_bf16 v[36:39], a[66:67], a[2:3], v[36:39]// 0000000045A8: D3E10024 1C920542
	s_add_u32 m0, 0x100, s48                                   // 0000000045B0: 807C30FF 00000100
	buffer_load_dword v18, s[4:7], 0 offen lds                 // 0000000045B8: E0511000 80010012
	v_mfma_f32_16x16x16_bf16 v[36:39], a[68:69], a[4:5], v[36:39]// 0000000045C0: D3E10024 1C920944
	s_add_u32 m0, 0x200, s48                                   // 0000000045C8: 807C30FF 00000200
	buffer_load_dword v19, s[4:7], 0 offen lds                 // 0000000045D0: E0511000 80010013
	ds_read_b128 a[40:43], v25 offset:512                      // 0000000045D8: DBFE0200 28000019
	ds_read_b128 a[44:47], v25 offset:576                      // 0000000045E0: DBFE0240 2C000019
	v_mfma_f32_16x16x16_bf16 v[36:39], a[70:71], a[6:7], v[36:39]// 0000000045E8: D3E10024 1C920D46
	s_add_u32 m0, 0x300, s48                                   // 0000000045F0: 807C30FF 00000300
	buffer_load_dword v20, s[4:7], 0 offen lds                 // 0000000045F8: E0511000 80010014
	v_mfma_f32_16x16x16_bf16 v[40:43], a[64:65], a[8:9], v[40:43]// 000000004600: D3E10028 1CA21140
	s_add_u32 m0, 0x400, s48                                   // 000000004608: 807C30FF 00000400
	buffer_load_dword v21, s[4:7], 0 offen lds                 // 000000004610: E0511000 80010015
	ds_read_b128 a[48:51], v25 offset:1024                     // 000000004618: DBFE0400 30000019
	ds_read_b128 a[52:55], v25 offset:1088                     // 000000004620: DBFE0440 34000019
	v_mfma_f32_16x16x16_bf16 v[40:43], a[66:67], a[10:11], v[40:43]// 000000004628: D3E10028 1CA21542
	s_add_u32 m0, 0x500, s48                                   // 000000004630: 807C30FF 00000500
	buffer_load_dword v22, s[4:7], 0 offen lds                 // 000000004638: E0511000 80010016
	v_mfma_f32_16x16x16_bf16 v[40:43], a[68:69], a[12:13], v[40:43]// 000000004640: D3E10028 1CA21944
	s_add_u32 m0, 0x600, s48                                   // 000000004648: 807C30FF 00000600
	buffer_load_dword v23, s[4:7], 0 offen lds                 // 000000004650: E0511000 80010017
	ds_read_b128 a[56:59], v25 offset:1536                     // 000000004658: DBFE0600 38000019
	ds_read_b128 a[60:63], v25 offset:1600                     // 000000004660: DBFE0640 3C000019
	v_mfma_f32_16x16x16_bf16 v[40:43], a[70:71], a[14:15], v[40:43]// 000000004668: D3E10028 1CA21D46
	s_add_u32 m0, 0x700, s48                                   // 000000004670: 807C30FF 00000700
	buffer_load_dword v24, s[4:7], 0 offen lds                 // 000000004678: E0511000 80010018
	v_mfma_f32_16x16x16_bf16 v[44:47], a[64:65], a[16:17], v[44:47]// 000000004680: D3E1002C 1CB22140
	s_add_u32 s31, 0x100, s33                                  // 000000004688: 801F21FF 00000100
	s_cmp_lt_u32 s31, s34                                      // 000000004690: BF0A221F
	s_cselect_b32 s44, s44, 0                                  // 000000004694: 852C802C
	s_add_u32 m0, 0, s51                                       // 000000004698: 807C3380
	buffer_load_dword v26, s[8:11], 0 offen lds                // 00000000469C: E0511000 8002001A
	s_add_u32 s4, s44, s4                                      // 0000000046A4: 8004042C
	s_addc_u32 s5, 0, s5                                       // 0000000046A8: 82050580
	ds_read_b128 a[72:75], v34 offset:24960                    // 0000000046AC: DBFE6180 48000022
	ds_read_b128 a[76:79], v34 offset:25024                    // 0000000046B4: DBFE61C0 4C000022
	v_mfma_f32_16x16x16_bf16 v[44:47], a[66:67], a[18:19], v[44:47]// 0000000046BC: D3E1002C 1CB22542
	s_add_u32 m0, 0x100, s51                                   // 0000000046C4: 807C33FF 00000100
	buffer_load_dword v27, s[8:11], 0 offen lds                // 0000000046CC: E0511000 8002001B
	v_mfma_f32_16x16x16_bf16 v[44:47], a[68:69], a[20:21], v[44:47]// 0000000046D4: D3E1002C 1CB22944
	s_add_u32 m0, 0x200, s51                                   // 0000000046DC: 807C33FF 00000200
	buffer_load_dword v28, s[8:11], 0 offen lds                // 0000000046E4: E0511000 8002001C
	v_mfma_f32_16x16x16_bf16 v[44:47], a[70:71], a[22:23], v[44:47]// 0000000046EC: D3E1002C 1CB22D46
	s_add_u32 m0, 0x300, s51                                   // 0000000046F4: 807C33FF 00000300
	buffer_load_dword v29, s[8:11], 0 offen lds                // 0000000046FC: E0511000 8002001D
	v_mfma_f32_16x16x16_bf16 v[48:51], a[64:65], a[24:25], v[48:51]// 000000004704: D3E10030 1CC23140
	s_add_u32 m0, 0x400, s51                                   // 00000000470C: 807C33FF 00000400
	buffer_load_dword v30, s[8:11], 0 offen lds                // 000000004714: E0511000 8002001E
	v_mfma_f32_16x16x16_bf16 v[48:51], a[66:67], a[26:27], v[48:51]// 00000000471C: D3E10030 1CC23542
	s_add_u32 m0, 0x500, s51                                   // 000000004724: 807C33FF 00000500
	buffer_load_dword v31, s[8:11], 0 offen lds                // 00000000472C: E0511000 8002001F
	v_mfma_f32_16x16x16_bf16 v[48:51], a[68:69], a[28:29], v[48:51]// 000000004734: D3E10030 1CC23944
	s_add_u32 m0, 0x600, s51                                   // 00000000473C: 807C33FF 00000600
	buffer_load_dword v32, s[8:11], 0 offen lds                // 000000004744: E0511000 80020020
	v_mfma_f32_16x16x16_bf16 v[48:51], a[70:71], a[30:31], v[48:51]// 00000000474C: D3E10030 1CC23D46
	s_add_u32 m0, 0x700, s51                                   // 000000004754: 807C33FF 00000700
	buffer_load_dword v33, s[8:11], 0 offen lds                // 00000000475C: E0511000 80020021
	s_add_u32 s31, 0x100, s33                                  // 000000004764: 801F21FF 00000100
	s_cmp_lt_u32 s31, s34                                      // 00000000476C: BF0A221F
	s_cselect_b32 s45, s45, 0                                  // 000000004770: 852D802D
	s_add_u32 s8, s45, s8                                      // 000000004774: 8008082D
	s_addc_u32 s9, 0, s9                                       // 000000004778: 82090980
	s_addk_i32 s33, 0x40                                       // 00000000477C: B7210040
	s_cmp_lt_i32 s33, s34                                      // 000000004780: BF042221
	s_cbranch_scc0 label_08EC                                  // 000000004784: BF84018A
	s_waitcnt vmcnt(16) lgkmcnt(0)                             // 000000004788: BF8C4070
	s_barrier                                                  // 00000000478C: BF8A0000
	v_mfma_f32_16x16x16_bf16 v[36:39], a[72:73], a[32:33], v[36:39]// 000000004790: D3E10024 1C924148
	s_add_u32 m0, 0, s46                                       // 000000004798: 807C2E80
	buffer_load_dword v17, s[4:7], 0 offen lds                 // 00000000479C: E0511000 80010011
	ds_read_b128 a[0:3], v25 offset:8320                       // 0000000047A4: DBFE2080 00000019
	ds_read_b128 a[4:7], v25 offset:8384                       // 0000000047AC: DBFE20C0 04000019
	v_mfma_f32_16x16x16_bf16 v[36:39], a[74:75], a[34:35], v[36:39]// 0000000047B4: D3E10024 1C92454A
	s_add_u32 m0, 0x100, s46                                   // 0000000047BC: 807C2EFF 00000100
	buffer_load_dword v18, s[4:7], 0 offen lds                 // 0000000047C4: E0511000 80010012
	v_mfma_f32_16x16x16_bf16 v[36:39], a[76:77], a[36:37], v[36:39]// 0000000047CC: D3E10024 1C92494C
	s_add_u32 m0, 0x200, s46                                   // 0000000047D4: 807C2EFF 00000200
	buffer_load_dword v19, s[4:7], 0 offen lds                 // 0000000047DC: E0511000 80010013
	ds_read_b128 a[8:11], v25 offset:8832                      // 0000000047E4: DBFE2280 08000019
	ds_read_b128 a[12:15], v25 offset:8896                     // 0000000047EC: DBFE22C0 0C000019
	v_mfma_f32_16x16x16_bf16 v[36:39], a[78:79], a[38:39], v[36:39]// 0000000047F4: D3E10024 1C924D4E
	s_add_u32 m0, 0x300, s46                                   // 0000000047FC: 807C2EFF 00000300
	buffer_load_dword v20, s[4:7], 0 offen lds                 // 000000004804: E0511000 80010014
	v_mfma_f32_16x16x16_bf16 v[40:43], a[72:73], a[40:41], v[40:43]// 00000000480C: D3E10028 1CA25148
	s_add_u32 m0, 0x400, s46                                   // 000000004814: 807C2EFF 00000400
	buffer_load_dword v21, s[4:7], 0 offen lds                 // 00000000481C: E0511000 80010015
	ds_read_b128 a[16:19], v25 offset:9344                     // 000000004824: DBFE2480 10000019
	ds_read_b128 a[20:23], v25 offset:9408                     // 00000000482C: DBFE24C0 14000019
	v_mfma_f32_16x16x16_bf16 v[40:43], a[74:75], a[42:43], v[40:43]// 000000004834: D3E10028 1CA2554A
	s_add_u32 m0, 0x500, s46                                   // 00000000483C: 807C2EFF 00000500
	buffer_load_dword v22, s[4:7], 0 offen lds                 // 000000004844: E0511000 80010016
	v_mfma_f32_16x16x16_bf16 v[40:43], a[76:77], a[44:45], v[40:43]// 00000000484C: D3E10028 1CA2594C
	s_add_u32 m0, 0x600, s46                                   // 000000004854: 807C2EFF 00000600
	buffer_load_dword v23, s[4:7], 0 offen lds                 // 00000000485C: E0511000 80010017
	ds_read_b128 a[24:27], v25 offset:9856                     // 000000004864: DBFE2680 18000019
	ds_read_b128 a[28:31], v25 offset:9920                     // 00000000486C: DBFE26C0 1C000019
	v_mfma_f32_16x16x16_bf16 v[40:43], a[78:79], a[46:47], v[40:43]// 000000004874: D3E10028 1CA25D4E
	s_add_u32 m0, 0x700, s46                                   // 00000000487C: 807C2EFF 00000700
	buffer_load_dword v24, s[4:7], 0 offen lds                 // 000000004884: E0511000 80010018
	v_mfma_f32_16x16x16_bf16 v[44:47], a[72:73], a[48:49], v[44:47]// 00000000488C: D3E1002C 1CB26148
	s_add_u32 s31, 0x100, s33                                  // 000000004894: 801F21FF 00000100
	s_cmp_lt_u32 s31, s34                                      // 00000000489C: BF0A221F
	s_cselect_b32 s44, s44, 0                                  // 0000000048A0: 852C802C
	s_add_u32 m0, 0, s49                                       // 0000000048A4: 807C3180
	buffer_load_dword v26, s[8:11], 0 offen lds                // 0000000048A8: E0511000 8002001A
	s_add_u32 s4, s44, s4                                      // 0000000048B0: 8004042C
	s_addc_u32 s5, 0, s5                                       // 0000000048B4: 82050580
	ds_read_b128 a[64:67], v34 offset:33280                    // 0000000048B8: DBFE8200 40000022
	ds_read_b128 a[68:71], v34 offset:33344                    // 0000000048C0: DBFE8240 44000022
	v_mfma_f32_16x16x16_bf16 v[44:47], a[74:75], a[50:51], v[44:47]// 0000000048C8: D3E1002C 1CB2654A
	s_add_u32 m0, 0x100, s49                                   // 0000000048D0: 807C31FF 00000100
	buffer_load_dword v27, s[8:11], 0 offen lds                // 0000000048D8: E0511000 8002001B
	v_mfma_f32_16x16x16_bf16 v[44:47], a[76:77], a[52:53], v[44:47]// 0000000048E0: D3E1002C 1CB2694C
	s_add_u32 m0, 0x200, s49                                   // 0000000048E8: 807C31FF 00000200
	buffer_load_dword v28, s[8:11], 0 offen lds                // 0000000048F0: E0511000 8002001C
	v_mfma_f32_16x16x16_bf16 v[44:47], a[78:79], a[54:55], v[44:47]// 0000000048F8: D3E1002C 1CB26D4E
	s_add_u32 m0, 0x300, s49                                   // 000000004900: 807C31FF 00000300
	buffer_load_dword v29, s[8:11], 0 offen lds                // 000000004908: E0511000 8002001D
	v_mfma_f32_16x16x16_bf16 v[48:51], a[72:73], a[56:57], v[48:51]// 000000004910: D3E10030 1CC27148
	s_add_u32 m0, 0x400, s49                                   // 000000004918: 807C31FF 00000400
	buffer_load_dword v30, s[8:11], 0 offen lds                // 000000004920: E0511000 8002001E
	v_mfma_f32_16x16x16_bf16 v[48:51], a[74:75], a[58:59], v[48:51]// 000000004928: D3E10030 1CC2754A
	s_add_u32 m0, 0x500, s49                                   // 000000004930: 807C31FF 00000500
	buffer_load_dword v31, s[8:11], 0 offen lds                // 000000004938: E0511000 8002001F
	v_mfma_f32_16x16x16_bf16 v[48:51], a[76:77], a[60:61], v[48:51]// 000000004940: D3E10030 1CC2794C
	s_add_u32 m0, 0x600, s49                                   // 000000004948: 807C31FF 00000600
	buffer_load_dword v32, s[8:11], 0 offen lds                // 000000004950: E0511000 80020020
	v_mfma_f32_16x16x16_bf16 v[48:51], a[78:79], a[62:63], v[48:51]// 000000004958: D3E10030 1CC27D4E
	s_add_u32 m0, 0x700, s49                                   // 000000004960: 807C31FF 00000700
	buffer_load_dword v33, s[8:11], 0 offen lds                // 000000004968: E0511000 80020021
	s_add_u32 s31, 0x100, s33                                  // 000000004970: 801F21FF 00000100
	s_cmp_lt_u32 s31, s34                                      // 000000004978: BF0A221F
	s_cselect_b32 s45, s45, 0                                  // 00000000497C: 852D802D
	s_add_u32 s8, s45, s8                                      // 000000004980: 8008082D
	s_addc_u32 s9, 0, s9                                       // 000000004984: 82090980
	s_addk_i32 s33, 0x40                                       // 000000004988: B7210040
	s_cmp_lt_i32 s33, s34                                      // 00000000498C: BF042221
	s_cbranch_scc0 label_08EC                                  // 000000004990: BF840107
	s_waitcnt vmcnt(16) lgkmcnt(0)                             // 000000004994: BF8C4070
	s_barrier                                                  // 000000004998: BF8A0000
	v_mfma_f32_16x16x16_bf16 v[36:39], a[64:65], a[0:1], v[36:39]// 00000000499C: D3E10024 1C920140
	s_add_u32 m0, 0, s47                                       // 0000000049A4: 807C2F80
	buffer_load_dword v17, s[4:7], 0 offen lds                 // 0000000049A8: E0511000 80010011
	ds_read_b128 a[32:35], v25 offset:16640                    // 0000000049B0: DBFE4100 20000019
	ds_read_b128 a[36:39], v25 offset:16704                    // 0000000049B8: DBFE4140 24000019
	v_mfma_f32_16x16x16_bf16 v[36:39], a[66:67], a[2:3], v[36:39]// 0000000049C0: D3E10024 1C920542
	s_add_u32 m0, 0x100, s47                                   // 0000000049C8: 807C2FFF 00000100
	buffer_load_dword v18, s[4:7], 0 offen lds                 // 0000000049D0: E0511000 80010012
	v_mfma_f32_16x16x16_bf16 v[36:39], a[68:69], a[4:5], v[36:39]// 0000000049D8: D3E10024 1C920944
	s_add_u32 m0, 0x200, s47                                   // 0000000049E0: 807C2FFF 00000200
	buffer_load_dword v19, s[4:7], 0 offen lds                 // 0000000049E8: E0511000 80010013
	ds_read_b128 a[40:43], v25 offset:17152                    // 0000000049F0: DBFE4300 28000019
	ds_read_b128 a[44:47], v25 offset:17216                    // 0000000049F8: DBFE4340 2C000019
	v_mfma_f32_16x16x16_bf16 v[36:39], a[70:71], a[6:7], v[36:39]// 000000004A00: D3E10024 1C920D46
	s_add_u32 m0, 0x300, s47                                   // 000000004A08: 807C2FFF 00000300
	buffer_load_dword v20, s[4:7], 0 offen lds                 // 000000004A10: E0511000 80010014
	v_mfma_f32_16x16x16_bf16 v[40:43], a[64:65], a[8:9], v[40:43]// 000000004A18: D3E10028 1CA21140
	s_add_u32 m0, 0x400, s47                                   // 000000004A20: 807C2FFF 00000400
	buffer_load_dword v21, s[4:7], 0 offen lds                 // 000000004A28: E0511000 80010015
	ds_read_b128 a[48:51], v25 offset:17664                    // 000000004A30: DBFE4500 30000019
	ds_read_b128 a[52:55], v25 offset:17728                    // 000000004A38: DBFE4540 34000019
	v_mfma_f32_16x16x16_bf16 v[40:43], a[66:67], a[10:11], v[40:43]// 000000004A40: D3E10028 1CA21542
	s_add_u32 m0, 0x500, s47                                   // 000000004A48: 807C2FFF 00000500
	buffer_load_dword v22, s[4:7], 0 offen lds                 // 000000004A50: E0511000 80010016
	v_mfma_f32_16x16x16_bf16 v[40:43], a[68:69], a[12:13], v[40:43]// 000000004A58: D3E10028 1CA21944
	s_add_u32 m0, 0x600, s47                                   // 000000004A60: 807C2FFF 00000600
	buffer_load_dword v23, s[4:7], 0 offen lds                 // 000000004A68: E0511000 80010017
	ds_read_b128 a[56:59], v25 offset:18176                    // 000000004A70: DBFE4700 38000019
	ds_read_b128 a[60:63], v25 offset:18240                    // 000000004A78: DBFE4740 3C000019
	v_mfma_f32_16x16x16_bf16 v[40:43], a[70:71], a[14:15], v[40:43]// 000000004A80: D3E10028 1CA21D46
	s_add_u32 m0, 0x700, s47                                   // 000000004A88: 807C2FFF 00000700
	buffer_load_dword v24, s[4:7], 0 offen lds                 // 000000004A90: E0511000 80010018
	v_mfma_f32_16x16x16_bf16 v[44:47], a[64:65], a[16:17], v[44:47]// 000000004A98: D3E1002C 1CB22140
	s_add_u32 s31, 0x100, s33                                  // 000000004AA0: 801F21FF 00000100
	s_cmp_lt_u32 s31, s34                                      // 000000004AA8: BF0A221F
	s_cselect_b32 s44, s44, 0                                  // 000000004AAC: 852C802C
	s_add_u32 m0, 0, s50                                       // 000000004AB0: 807C3280
	buffer_load_dword v26, s[8:11], 0 offen lds                // 000000004AB4: E0511000 8002001A
	s_add_u32 s4, s44, s4                                      // 000000004ABC: 8004042C
	s_addc_u32 s5, 0, s5                                       // 000000004AC0: 82050580
	ds_read_b128 a[72:75], v34 offset:41600                    // 000000004AC4: DBFEA280 48000022
	ds_read_b128 a[76:79], v34 offset:41664                    // 000000004ACC: DBFEA2C0 4C000022
	v_mfma_f32_16x16x16_bf16 v[44:47], a[66:67], a[18:19], v[44:47]// 000000004AD4: D3E1002C 1CB22542
	s_add_u32 m0, 0x100, s50                                   // 000000004ADC: 807C32FF 00000100
	buffer_load_dword v27, s[8:11], 0 offen lds                // 000000004AE4: E0511000 8002001B
	v_mfma_f32_16x16x16_bf16 v[44:47], a[68:69], a[20:21], v[44:47]// 000000004AEC: D3E1002C 1CB22944
	s_add_u32 m0, 0x200, s50                                   // 000000004AF4: 807C32FF 00000200
	buffer_load_dword v28, s[8:11], 0 offen lds                // 000000004AFC: E0511000 8002001C
	v_mfma_f32_16x16x16_bf16 v[44:47], a[70:71], a[22:23], v[44:47]// 000000004B04: D3E1002C 1CB22D46
	s_add_u32 m0, 0x300, s50                                   // 000000004B0C: 807C32FF 00000300
	buffer_load_dword v29, s[8:11], 0 offen lds                // 000000004B14: E0511000 8002001D
	v_mfma_f32_16x16x16_bf16 v[48:51], a[64:65], a[24:25], v[48:51]// 000000004B1C: D3E10030 1CC23140
	s_add_u32 m0, 0x400, s50                                   // 000000004B24: 807C32FF 00000400
	buffer_load_dword v30, s[8:11], 0 offen lds                // 000000004B2C: E0511000 8002001E
	v_mfma_f32_16x16x16_bf16 v[48:51], a[66:67], a[26:27], v[48:51]// 000000004B34: D3E10030 1CC23542
	s_add_u32 m0, 0x500, s50                                   // 000000004B3C: 807C32FF 00000500
	buffer_load_dword v31, s[8:11], 0 offen lds                // 000000004B44: E0511000 8002001F
	v_mfma_f32_16x16x16_bf16 v[48:51], a[68:69], a[28:29], v[48:51]// 000000004B4C: D3E10030 1CC23944
	s_add_u32 m0, 0x600, s50                                   // 000000004B54: 807C32FF 00000600
	buffer_load_dword v32, s[8:11], 0 offen lds                // 000000004B5C: E0511000 80020020
	v_mfma_f32_16x16x16_bf16 v[48:51], a[70:71], a[30:31], v[48:51]// 000000004B64: D3E10030 1CC23D46
	s_add_u32 m0, 0x700, s50                                   // 000000004B6C: 807C32FF 00000700
	buffer_load_dword v33, s[8:11], 0 offen lds                // 000000004B74: E0511000 80020021
	s_add_u32 s31, 0x100, s33                                  // 000000004B7C: 801F21FF 00000100
	s_cmp_lt_u32 s31, s34                                      // 000000004B84: BF0A221F
	s_cselect_b32 s45, s45, 0                                  // 000000004B88: 852D802D
	s_add_u32 s8, s45, s8                                      // 000000004B8C: 8008082D
	s_addc_u32 s9, 0, s9                                       // 000000004B90: 82090980
	s_addk_i32 s33, 0x40                                       // 000000004B94: B7210040
	s_cmp_lt_i32 s33, s34                                      // 000000004B98: BF042221
	s_cbranch_scc0 label_08EC                                  // 000000004B9C: BF840084
	s_waitcnt vmcnt(16) lgkmcnt(0)                             // 000000004BA0: BF8C4070
	s_barrier                                                  // 000000004BA4: BF8A0000
	v_mfma_f32_16x16x16_bf16 v[36:39], a[72:73], a[32:33], v[36:39]// 000000004BA8: D3E10024 1C924148
	s_add_u32 m0, 0, s48                                       // 000000004BB0: 807C3080
	buffer_load_dword v17, s[4:7], 0 offen lds                 // 000000004BB4: E0511000 80010011
	ds_read_b128 a[0:3], v25                                   // 000000004BBC: DBFE0000 00000019
	ds_read_b128 a[4:7], v25 offset:64                         // 000000004BC4: DBFE0040 04000019
	v_mfma_f32_16x16x16_bf16 v[36:39], a[74:75], a[34:35], v[36:39]// 000000004BCC: D3E10024 1C92454A
	s_add_u32 m0, 0x100, s48                                   // 000000004BD4: 807C30FF 00000100
	buffer_load_dword v18, s[4:7], 0 offen lds                 // 000000004BDC: E0511000 80010012
	v_mfma_f32_16x16x16_bf16 v[36:39], a[76:77], a[36:37], v[36:39]// 000000004BE4: D3E10024 1C92494C
	s_add_u32 m0, 0x200, s48                                   // 000000004BEC: 807C30FF 00000200
	buffer_load_dword v19, s[4:7], 0 offen lds                 // 000000004BF4: E0511000 80010013
	ds_read_b128 a[8:11], v25 offset:512                       // 000000004BFC: DBFE0200 08000019
	ds_read_b128 a[12:15], v25 offset:576                      // 000000004C04: DBFE0240 0C000019
	v_mfma_f32_16x16x16_bf16 v[36:39], a[78:79], a[38:39], v[36:39]// 000000004C0C: D3E10024 1C924D4E
	s_add_u32 m0, 0x300, s48                                   // 000000004C14: 807C30FF 00000300
	buffer_load_dword v20, s[4:7], 0 offen lds                 // 000000004C1C: E0511000 80010014
	v_mfma_f32_16x16x16_bf16 v[40:43], a[72:73], a[40:41], v[40:43]// 000000004C24: D3E10028 1CA25148
	s_add_u32 m0, 0x400, s48                                   // 000000004C2C: 807C30FF 00000400
	buffer_load_dword v21, s[4:7], 0 offen lds                 // 000000004C34: E0511000 80010015
	ds_read_b128 a[16:19], v25 offset:1024                     // 000000004C3C: DBFE0400 10000019
	ds_read_b128 a[20:23], v25 offset:1088                     // 000000004C44: DBFE0440 14000019
	v_mfma_f32_16x16x16_bf16 v[40:43], a[74:75], a[42:43], v[40:43]// 000000004C4C: D3E10028 1CA2554A
	s_add_u32 m0, 0x500, s48                                   // 000000004C54: 807C30FF 00000500
	buffer_load_dword v22, s[4:7], 0 offen lds                 // 000000004C5C: E0511000 80010016
	v_mfma_f32_16x16x16_bf16 v[40:43], a[76:77], a[44:45], v[40:43]// 000000004C64: D3E10028 1CA2594C
	s_add_u32 m0, 0x600, s48                                   // 000000004C6C: 807C30FF 00000600
	buffer_load_dword v23, s[4:7], 0 offen lds                 // 000000004C74: E0511000 80010017
	ds_read_b128 a[24:27], v25 offset:1536                     // 000000004C7C: DBFE0600 18000019
	ds_read_b128 a[28:31], v25 offset:1600                     // 000000004C84: DBFE0640 1C000019
	v_mfma_f32_16x16x16_bf16 v[40:43], a[78:79], a[46:47], v[40:43]// 000000004C8C: D3E10028 1CA25D4E
	s_add_u32 m0, 0x700, s48                                   // 000000004C94: 807C30FF 00000700
	buffer_load_dword v24, s[4:7], 0 offen lds                 // 000000004C9C: E0511000 80010018
	v_mfma_f32_16x16x16_bf16 v[44:47], a[72:73], a[48:49], v[44:47]// 000000004CA4: D3E1002C 1CB26148
	s_add_u32 s31, 0x100, s33                                  // 000000004CAC: 801F21FF 00000100
	s_cmp_lt_u32 s31, s34                                      // 000000004CB4: BF0A221F
	s_cselect_b32 s44, s44, 0                                  // 000000004CB8: 852C802C
	s_add_u32 m0, 0, s51                                       // 000000004CBC: 807C3380
	buffer_load_dword v26, s[8:11], 0 offen lds                // 000000004CC0: E0511000 8002001A
	s_add_u32 s4, s44, s4                                      // 000000004CC8: 8004042C
	s_addc_u32 s5, 0, s5                                       // 000000004CCC: 82050580
	ds_read_b128 a[64:67], v34 offset:24960                    // 000000004CD0: DBFE6180 40000022
	ds_read_b128 a[68:71], v34 offset:25024                    // 000000004CD8: DBFE61C0 44000022
	v_mfma_f32_16x16x16_bf16 v[44:47], a[74:75], a[50:51], v[44:47]// 000000004CE0: D3E1002C 1CB2654A
	s_add_u32 m0, 0x100, s51                                   // 000000004CE8: 807C33FF 00000100
	buffer_load_dword v27, s[8:11], 0 offen lds                // 000000004CF0: E0511000 8002001B
	v_mfma_f32_16x16x16_bf16 v[44:47], a[76:77], a[52:53], v[44:47]// 000000004CF8: D3E1002C 1CB2694C
	s_add_u32 m0, 0x200, s51                                   // 000000004D00: 807C33FF 00000200
	buffer_load_dword v28, s[8:11], 0 offen lds                // 000000004D08: E0511000 8002001C
	v_mfma_f32_16x16x16_bf16 v[44:47], a[78:79], a[54:55], v[44:47]// 000000004D10: D3E1002C 1CB26D4E
	s_add_u32 m0, 0x300, s51                                   // 000000004D18: 807C33FF 00000300
	buffer_load_dword v29, s[8:11], 0 offen lds                // 000000004D20: E0511000 8002001D
	v_mfma_f32_16x16x16_bf16 v[48:51], a[72:73], a[56:57], v[48:51]// 000000004D28: D3E10030 1CC27148
	s_add_u32 m0, 0x400, s51                                   // 000000004D30: 807C33FF 00000400
	buffer_load_dword v30, s[8:11], 0 offen lds                // 000000004D38: E0511000 8002001E
	v_mfma_f32_16x16x16_bf16 v[48:51], a[74:75], a[58:59], v[48:51]// 000000004D40: D3E10030 1CC2754A
	s_add_u32 m0, 0x500, s51                                   // 000000004D48: 807C33FF 00000500
	buffer_load_dword v31, s[8:11], 0 offen lds                // 000000004D50: E0511000 8002001F
	v_mfma_f32_16x16x16_bf16 v[48:51], a[76:77], a[60:61], v[48:51]// 000000004D58: D3E10030 1CC2794C
	s_add_u32 m0, 0x600, s51                                   // 000000004D60: 807C33FF 00000600
	buffer_load_dword v32, s[8:11], 0 offen lds                // 000000004D68: E0511000 80020020
	v_mfma_f32_16x16x16_bf16 v[48:51], a[78:79], a[62:63], v[48:51]// 000000004D70: D3E10030 1CC27D4E
	s_add_u32 m0, 0x700, s51                                   // 000000004D78: 807C33FF 00000700
	buffer_load_dword v33, s[8:11], 0 offen lds                // 000000004D80: E0511000 80020021
	s_add_u32 s31, 0x100, s33                                  // 000000004D88: 801F21FF 00000100
	s_cmp_lt_u32 s31, s34                                      // 000000004D90: BF0A221F
	s_cselect_b32 s45, s45, 0                                  // 000000004D94: 852D802D
	s_add_u32 s8, s45, s8                                      // 000000004D98: 8008082D
	s_addc_u32 s9, 0, s9                                       // 000000004D9C: 82090980
	s_addk_i32 s33, 0x40                                       // 000000004DA0: B7210040
	s_cmp_lt_i32 s33, s34                                      // 000000004DA4: BF042221
	s_cbranch_scc0 label_08EC                                  // 000000004DA8: BF840001
	s_branch label_05D9                                        // 000000004DAC: BF82FCED

0000000000004db0 <label_08EC>:
	s_cmp_le_u32 s52, 1                                        // 000000004DB0: BF0B8134
	s_cbranch_scc1 label_0C87                                  // 000000004DB4: BF850399
	s_mov_b32 s31, 64                                          // 000000004DB8: BE9F00C0
	s_cmp_lt_u32 s55, s31                                      // 000000004DBC: BF0A1F37
	s_cbranch_scc1 label_0A5A                                  // 000000004DC0: BF850169
	v_mov_b32_e32 v5, 0                                        // 000000004DC4: 7E0A0280
	s_and_b32 s17, s17, 0xffff                                 // 000000004DC8: 8611FF11 0000FFFF
	s_cmp_lt_u32 s54, 1                                        // 000000004DD0: BF0A8136
	s_cbranch_scc0 label_0987                                  // 000000004DD4: BF840091
	v_lshrrev_b32_e32 v4, 4, v0                                // 000000004DD8: 20080084
	v_mul_u32_u24_e32 v25, 0x44, v4                            // 000000004DDC: 103208FF 00000044
	v_and_b32_e32 v4, 15, v0                                   // 000000004DE4: 2608008F
	v_mul_lo_u32 v5, 4, v4                                     // 000000004DE8: D2850005 00020884
	v_add_u32_e32 v25, v5, v25                                 // 000000004DF0: 68323305
	s_mul_i32 s31, s24, 0x110                                  // 000000004DF4: 921FFF18 00000110
	v_add_u32_e32 v25, s31, v25                                // 000000004DFC: 6832321F
	v_lshlrev_b32_e32 v25, 2, v25                              // 000000004E00: 24323282
	v_lshrrev_b32_e32 v4, 2, v0                                // 000000004E04: 20080082
	v_mul_u32_u24_e32 v34, 0x44, v4                            // 000000004E08: 104408FF 00000044
	v_and_b32_e32 v4, 3, v0                                    // 000000004E10: 26080083
	v_add_u32_e32 v34, v4, v34                                 // 000000004E14: 68444504
	s_mul_i32 s31, s24, 4                                      // 000000004E18: 921F8418
	v_add_u32_e32 v34, s31, v34                                // 000000004E1C: 6844441F
	v_lshlrev_b32_e32 v34, 2, v34                              // 000000004E20: 24444482
	s_waitcnt vmcnt(0) expcnt(0) lgkmcnt(0)                    // 000000004E24: BF8C0000
	s_barrier                                                  // 000000004E28: BF8A0000
	ds_write_b128 v25, v[36:39]                                // 000000004E2C: D9BE0000 00002419
	ds_write_b128 v25, v[40:43] offset:4352                    // 000000004E34: D9BE1100 00002819
	ds_write_b128 v25, v[44:47] offset:8704                    // 000000004E3C: D9BE2200 00002C19
	ds_write_b128 v25, v[48:51] offset:13056                   // 000000004E44: D9BE3300 00003019
	s_waitcnt lgkmcnt(0)                                       // 000000004E4C: BF8CC07F
	s_barrier                                                  // 000000004E50: BF8A0000
	ds_read_b32 v36, v34                                       // 000000004E54: D86C0000 24000022
	ds_read_b32 v37, v34 offset:64                             // 000000004E5C: D86C0040 25000022
	ds_read_b32 v38, v34 offset:128                            // 000000004E64: D86C0080 26000022
	ds_read_b32 v39, v34 offset:192                            // 000000004E6C: D86C00C0 27000022
	ds_read_b32 v40, v34 offset:4352                           // 000000004E74: D86C1100 28000022
	ds_read_b32 v41, v34 offset:4416                           // 000000004E7C: D86C1140 29000022
	ds_read_b32 v42, v34 offset:4480                           // 000000004E84: D86C1180 2A000022
	ds_read_b32 v43, v34 offset:4544                           // 000000004E8C: D86C11C0 2B000022
	ds_read_b32 v44, v34 offset:8704                           // 000000004E94: D86C2200 2C000022
	ds_read_b32 v45, v34 offset:8768                           // 000000004E9C: D86C2240 2D000022
	ds_read_b32 v46, v34 offset:8832                           // 000000004EA4: D86C2280 2E000022
	ds_read_b32 v47, v34 offset:8896                           // 000000004EAC: D86C22C0 2F000022
	ds_read_b32 v48, v34 offset:13056                          // 000000004EB4: D86C3300 30000022
	ds_read_b32 v49, v34 offset:13120                          // 000000004EBC: D86C3340 31000022
	ds_read_b32 v50, v34 offset:13184                          // 000000004EC4: D86C3380 32000022
	ds_read_b32 v51, v34 offset:13248                          // 000000004ECC: D86C33C0 33000022
	s_waitcnt lgkmcnt(0)                                       // 000000004ED4: BF8CC07F
	s_cmp_eq_u32 s24, 0                                        // 000000004ED8: BF068018
	s_cbranch_scc0 label_093E                                  // 000000004EDC: BF840006
	s_mov_b32 s31, 0                                           // 000000004EE0: BE9F0080

0000000000004ee4 <label_0939>:
	s_load_dword s32, s[40:41], s62 glc                        // 000000004EE4: C0010814 0000003E
	s_waitcnt lgkmcnt(0)                                       // 000000004EEC: BF8CC07F
	s_cmp_gt_u32 s32, s31                                      // 000000004EF0: BF081F20
	s_cbranch_scc0 label_0939                                  // 000000004EF4: BF84FFFB

0000000000004ef8 <label_093E>:
	s_barrier                                                  // 000000004EF8: BF8A0000
	s_mul_i32 s31, s30, 4                                      // 000000004EFC: 921F841E
	v_mov_b32_e32 v4, v16                                      // 000000004F00: 7E080310
	global_atomic_add_f32 v4, v36, s[16:17]                    // 000000004F04: DD348000 00102404
	v_add_u32_e64 v4, v4, s31                                  // 000000004F0C: D1340004 00003F04
	global_atomic_add_f32 v4, v37, s[16:17]                    // 000000004F14: DD348000 00102504
	v_add_u32_e64 v4, v4, s31                                  // 000000004F1C: D1340004 00003F04
	global_atomic_add_f32 v4, v38, s[16:17]                    // 000000004F24: DD348000 00102604
	v_add_u32_e64 v4, v4, s31                                  // 000000004F2C: D1340004 00003F04
	global_atomic_add_f32 v4, v39, s[16:17]                    // 000000004F34: DD348000 00102704
	v_add_u32_e64 v4, v4, s31                                  // 000000004F3C: D1340004 00003F04
	global_atomic_add_f32 v4, v40, s[16:17]                    // 000000004F44: DD348000 00102804
	v_add_u32_e64 v4, v4, s31                                  // 000000004F4C: D1340004 00003F04
	global_atomic_add_f32 v4, v41, s[16:17]                    // 000000004F54: DD348000 00102904
	v_add_u32_e64 v4, v4, s31                                  // 000000004F5C: D1340004 00003F04
	global_atomic_add_f32 v4, v42, s[16:17]                    // 000000004F64: DD348000 00102A04
	v_add_u32_e64 v4, v4, s31                                  // 000000004F6C: D1340004 00003F04
	global_atomic_add_f32 v4, v43, s[16:17]                    // 000000004F74: DD348000 00102B04
	v_add_u32_e64 v4, v4, s31                                  // 000000004F7C: D1340004 00003F04
	global_atomic_add_f32 v4, v44, s[16:17]                    // 000000004F84: DD348000 00102C04
	v_add_u32_e64 v4, v4, s31                                  // 000000004F8C: D1340004 00003F04
	global_atomic_add_f32 v4, v45, s[16:17]                    // 000000004F94: DD348000 00102D04
	v_add_u32_e64 v4, v4, s31                                  // 000000004F9C: D1340004 00003F04
	global_atomic_add_f32 v4, v46, s[16:17]                    // 000000004FA4: DD348000 00102E04
	v_add_u32_e64 v4, v4, s31                                  // 000000004FAC: D1340004 00003F04
	global_atomic_add_f32 v4, v47, s[16:17]                    // 000000004FB4: DD348000 00102F04
	v_add_u32_e64 v4, v4, s31                                  // 000000004FBC: D1340004 00003F04
	global_atomic_add_f32 v4, v48, s[16:17]                    // 000000004FC4: DD348000 00103004
	v_add_u32_e64 v4, v4, s31                                  // 000000004FCC: D1340004 00003F04
	global_atomic_add_f32 v4, v49, s[16:17]                    // 000000004FD4: DD348000 00103104
	v_add_u32_e64 v4, v4, s31                                  // 000000004FDC: D1340004 00003F04
	global_atomic_add_f32 v4, v50, s[16:17]                    // 000000004FE4: DD348000 00103204
	v_add_u32_e64 v4, v4, s31                                  // 000000004FEC: D1340004 00003F04
	global_atomic_add_f32 v4, v51, s[16:17]                    // 000000004FF4: DD348000 00103304
	v_add_u32_e64 v4, v4, s31                                  // 000000004FFC: D1340004 00003F04
	s_barrier                                                  // 000000005004: BF8A0000
	s_cmp_eq_u32 s24, 0                                        // 000000005008: BF068018
	s_cbranch_scc0 label_0D0A                                  // 00000000500C: BF840386
	s_atomic_dec s52, s[40:41], s62                            // 000000005010: C2300D14 0000003E
	s_branch label_0D0A                                        // 000000005018: BF820383

000000000000501c <label_0987>:
	v_lshrrev_b32_e32 v4, 4, v0                                // 00000000501C: 20080084
	v_mul_u32_u24_e32 v25, 34, v4                              // 000000005020: 103208A2
	v_and_b32_e32 v4, 15, v0                                   // 000000005024: 2608008F
	v_mul_lo_u32 v5, 2, v4                                     // 000000005028: D2850005 00020882
	v_add_u32_e32 v25, v5, v25                                 // 000000005030: 68323305
	s_mul_i32 s31, s24, 0x88                                   // 000000005034: 921FFF18 00000088
	v_add_u32_e32 v25, s31, v25                                // 00000000503C: 6832321F
	v_lshlrev_b32_e32 v25, 2, v25                              // 000000005040: 24323282
	v_and_b32_e32 v4, 31, v0                                   // 000000005044: 2608009F
	v_lshrrev_b32_e32 v5, 1, v4                                // 000000005048: 200A0881
	v_mul_u32_u24_e32 v34, 34, v5                              // 00000000504C: 10440AA2
	v_and_b32_e32 v5, 1, v4                                    // 000000005050: 260A0881
	v_add_u32_e32 v34, v5, v34                                 // 000000005054: 68444505
	v_lshrrev_b32_e32 v4, 5, v0                                // 000000005058: 20080085
	v_mul_u32_u24_e32 v4, 8, v4                                // 00000000505C: 10080888
	v_add_u32_e32 v34, v4, v34                                 // 000000005060: 68444504
	s_mul_i32 s31, s24, 2                                      // 000000005064: 921F8218
	v_add_u32_e32 v34, s31, v34                                // 000000005068: 6844441F
	v_lshlrev_b32_e32 v34, 2, v34                              // 00000000506C: 24444482
	s_waitcnt vmcnt(0) expcnt(0) lgkmcnt(0)                    // 000000005070: BF8C0000
	s_barrier                                                  // 000000005074: BF8A0000
	v_cmp_u_f32_e64 s[60:61], v36, v36                         // 000000005078: D048003C 00024924
	v_add3_u32 v8, v36, v11, 1                                 // 000000005080: D1FF0008 02061724
	v_cndmask_b32_e64 v4, v8, v10, s[60:61]                    // 000000005088: D1000004 00F21508
	v_cmp_u_f32_e64 s[60:61], v37, v37                         // 000000005090: D048003C 00024B25
	v_add3_u32 v8, v37, v11, 1                                 // 000000005098: D1FF0008 02061725
	v_cndmask_b32_e64 v5, v8, v10, s[60:61]                    // 0000000050A0: D1000005 00F21508
	v_perm_b32 v52, v5, v4, s35                                // 0000000050A8: D1ED0034 008E0905
	v_cmp_u_f32_e64 s[60:61], v38, v38                         // 0000000050B0: D048003C 00024D26
	v_add3_u32 v8, v38, v11, 1                                 // 0000000050B8: D1FF0008 02061726
	v_cndmask_b32_e64 v4, v8, v10, s[60:61]                    // 0000000050C0: D1000004 00F21508
	v_cmp_u_f32_e64 s[60:61], v39, v39                         // 0000000050C8: D048003C 00024F27
	v_add3_u32 v8, v39, v11, 1                                 // 0000000050D0: D1FF0008 02061727
	v_cndmask_b32_e64 v5, v8, v10, s[60:61]                    // 0000000050D8: D1000005 00F21508
	v_perm_b32 v53, v5, v4, s35                                // 0000000050E0: D1ED0035 008E0905
	v_cmp_u_f32_e64 s[60:61], v40, v40                         // 0000000050E8: D048003C 00025128
	v_add3_u32 v8, v40, v11, 1                                 // 0000000050F0: D1FF0008 02061728
	v_cndmask_b32_e64 v4, v8, v10, s[60:61]                    // 0000000050F8: D1000004 00F21508
	v_cmp_u_f32_e64 s[60:61], v41, v41                         // 000000005100: D048003C 00025329
	v_add3_u32 v8, v41, v11, 1                                 // 000000005108: D1FF0008 02061729
	v_cndmask_b32_e64 v5, v8, v10, s[60:61]                    // 000000005110: D1000005 00F21508
	v_perm_b32 v54, v5, v4, s35                                // 000000005118: D1ED0036 008E0905
	v_cmp_u_f32_e64 s[60:61], v42, v42                         // 000000005120: D048003C 0002552A
	v_add3_u32 v8, v42, v11, 1                                 // 000000005128: D1FF0008 0206172A
	v_cndmask_b32_e64 v4, v8, v10, s[60:61]                    // 000000005130: D1000004 00F21508
	v_cmp_u_f32_e64 s[60:61], v43, v43                         // 000000005138: D048003C 0002572B
	v_add3_u32 v8, v43, v11, 1                                 // 000000005140: D1FF0008 0206172B
	v_cndmask_b32_e64 v5, v8, v10, s[60:61]                    // 000000005148: D1000005 00F21508
	v_perm_b32 v55, v5, v4, s35                                // 000000005150: D1ED0037 008E0905
	v_cmp_u_f32_e64 s[60:61], v44, v44                         // 000000005158: D048003C 0002592C
	v_add3_u32 v8, v44, v11, 1                                 // 000000005160: D1FF0008 0206172C
	v_cndmask_b32_e64 v4, v8, v10, s[60:61]                    // 000000005168: D1000004 00F21508
	v_cmp_u_f32_e64 s[60:61], v45, v45                         // 000000005170: D048003C 00025B2D
	v_add3_u32 v8, v45, v11, 1                                 // 000000005178: D1FF0008 0206172D
	v_cndmask_b32_e64 v5, v8, v10, s[60:61]                    // 000000005180: D1000005 00F21508
	v_perm_b32 v56, v5, v4, s35                                // 000000005188: D1ED0038 008E0905
	v_cmp_u_f32_e64 s[60:61], v46, v46                         // 000000005190: D048003C 00025D2E
	v_add3_u32 v8, v46, v11, 1                                 // 000000005198: D1FF0008 0206172E
	v_cndmask_b32_e64 v4, v8, v10, s[60:61]                    // 0000000051A0: D1000004 00F21508
	v_cmp_u_f32_e64 s[60:61], v47, v47                         // 0000000051A8: D048003C 00025F2F
	v_add3_u32 v8, v47, v11, 1                                 // 0000000051B0: D1FF0008 0206172F
	v_cndmask_b32_e64 v5, v8, v10, s[60:61]                    // 0000000051B8: D1000005 00F21508
	v_perm_b32 v57, v5, v4, s35                                // 0000000051C0: D1ED0039 008E0905
	v_cmp_u_f32_e64 s[60:61], v48, v48                         // 0000000051C8: D048003C 00026130
	v_add3_u32 v8, v48, v11, 1                                 // 0000000051D0: D1FF0008 02061730
	v_cndmask_b32_e64 v4, v8, v10, s[60:61]                    // 0000000051D8: D1000004 00F21508
	v_cmp_u_f32_e64 s[60:61], v49, v49                         // 0000000051E0: D048003C 00026331
	v_add3_u32 v8, v49, v11, 1                                 // 0000000051E8: D1FF0008 02061731
	v_cndmask_b32_e64 v5, v8, v10, s[60:61]                    // 0000000051F0: D1000005 00F21508
	v_perm_b32 v58, v5, v4, s35                                // 0000000051F8: D1ED003A 008E0905
	v_cmp_u_f32_e64 s[60:61], v50, v50                         // 000000005200: D048003C 00026532
	v_add3_u32 v8, v50, v11, 1                                 // 000000005208: D1FF0008 02061732
	v_cndmask_b32_e64 v4, v8, v10, s[60:61]                    // 000000005210: D1000004 00F21508
	v_cmp_u_f32_e64 s[60:61], v51, v51                         // 000000005218: D048003C 00026733
	v_add3_u32 v8, v51, v11, 1                                 // 000000005220: D1FF0008 02061733
	v_cndmask_b32_e64 v5, v8, v10, s[60:61]                    // 000000005228: D1000005 00F21508
	v_perm_b32 v59, v5, v4, s35                                // 000000005230: D1ED003B 008E0905
	ds_write_b64 v25, v[52:53]                                 // 000000005238: D89A0000 00003419
	ds_write_b64 v25, v[54:55] offset:2176                     // 000000005240: D89A0880 00003619
	ds_write_b64 v25, v[56:57] offset:4352                     // 000000005248: D89A1100 00003819
	ds_write_b64 v25, v[58:59] offset:6528                     // 000000005250: D89A1980 00003A19
	s_waitcnt lgkmcnt(0)                                       // 000000005258: BF8CC07F
	s_barrier                                                  // 00000000525C: BF8A0000
	ds_read_b32 v52, v34                                       // 000000005260: D86C0000 34000022
	ds_read_b32 v53, v34 offset:64                             // 000000005268: D86C0040 35000022
	ds_read_b32 v54, v34 offset:2176                           // 000000005270: D86C0880 36000022
	ds_read_b32 v55, v34 offset:2240                           // 000000005278: D86C08C0 37000022
	ds_read_b32 v56, v34 offset:4352                           // 000000005280: D86C1100 38000022
	ds_read_b32 v57, v34 offset:4416                           // 000000005288: D86C1140 39000022
	ds_read_b32 v58, v34 offset:6528                           // 000000005290: D86C1980 3A000022
	ds_read_b32 v59, v34 offset:6592                           // 000000005298: D86C19C0 3B000022
	s_waitcnt lgkmcnt(0)                                       // 0000000052A0: BF8CC07F
	s_cmp_eq_u32 s24, 0                                        // 0000000052A4: BF068018
	s_cbranch_scc0 label_0A31                                  // 0000000052A8: BF840006
	s_mov_b32 s31, 0                                           // 0000000052AC: BE9F0080

00000000000052b0 <label_0A2C>:
	s_load_dword s32, s[40:41], s62 glc                        // 0000000052B0: C0010814 0000003E
	s_waitcnt lgkmcnt(0)                                       // 0000000052B8: BF8CC07F
	s_cmp_gt_u32 s32, s31                                      // 0000000052BC: BF081F20
	s_cbranch_scc0 label_0A2C                                  // 0000000052C0: BF84FFFB

00000000000052c4 <label_0A31>:
	s_barrier                                                  // 0000000052C4: BF8A0000
	s_mul_i32 s31, s30, 8                                      // 0000000052C8: 921F881E
	v_mov_b32_e32 v4, v16                                      // 0000000052CC: 7E080310
	global_atomic_pk_add_bf16 v4, v52, s[16:17]                // 0000000052D0: DD488000 00103404
	v_add_u32_e64 v4, v4, s31                                  // 0000000052D8: D1340004 00003F04
	global_atomic_pk_add_bf16 v4, v53, s[16:17]                // 0000000052E0: DD488000 00103504
	v_add_u32_e64 v4, v4, s31                                  // 0000000052E8: D1340004 00003F04
	global_atomic_pk_add_bf16 v4, v54, s[16:17]                // 0000000052F0: DD488000 00103604
	v_add_u32_e64 v4, v4, s31                                  // 0000000052F8: D1340004 00003F04
	global_atomic_pk_add_bf16 v4, v55, s[16:17]                // 000000005300: DD488000 00103704
	v_add_u32_e64 v4, v4, s31                                  // 000000005308: D1340004 00003F04
	global_atomic_pk_add_bf16 v4, v56, s[16:17]                // 000000005310: DD488000 00103804
	v_add_u32_e64 v4, v4, s31                                  // 000000005318: D1340004 00003F04
	global_atomic_pk_add_bf16 v4, v57, s[16:17]                // 000000005320: DD488000 00103904
	v_add_u32_e64 v4, v4, s31                                  // 000000005328: D1340004 00003F04
	global_atomic_pk_add_bf16 v4, v58, s[16:17]                // 000000005330: DD488000 00103A04
	v_add_u32_e64 v4, v4, s31                                  // 000000005338: D1340004 00003F04
	global_atomic_pk_add_bf16 v4, v59, s[16:17]                // 000000005340: DD488000 00103B04
	v_add_u32_e64 v4, v4, s31                                  // 000000005348: D1340004 00003F04
	s_barrier                                                  // 000000005350: BF8A0000
	s_cmp_eq_u32 s24, 0                                        // 000000005354: BF068018
	s_cbranch_scc0 label_0D0A                                  // 000000005358: BF8402B3
	s_atomic_dec s52, s[40:41], s62                            // 00000000535C: C2300D14 0000003E
	s_branch label_0D0A                                        // 000000005364: BF8202B0

0000000000005368 <label_0A5A>:
	v_mov_b32_e32 v5, 0                                        // 000000005368: 7E0A0280
	s_and_b32 s17, s17, 0xffff                                 // 00000000536C: 8611FF11 0000FFFF
	s_cmp_lt_u32 s54, 1                                        // 000000005374: BF0A8136
	s_cbranch_scc0 label_0B26                                  // 000000005378: BF8400C7
	v_lshrrev_b32_e32 v4, 4, v0                                // 00000000537C: 20080084
	v_mul_u32_u24_e32 v25, 0x44, v4                            // 000000005380: 103208FF 00000044
	v_and_b32_e32 v4, 15, v0                                   // 000000005388: 2608008F
	v_mul_lo_u32 v5, 4, v4                                     // 00000000538C: D2850005 00020884
	v_add_u32_e32 v25, v5, v25                                 // 000000005394: 68323305
	s_mul_i32 s31, s24, 0x110                                  // 000000005398: 921FFF18 00000110
	v_add_u32_e32 v25, s31, v25                                // 0000000053A0: 6832321F
	v_lshlrev_b32_e32 v25, 2, v25                              // 0000000053A4: 24323282
	v_lshrrev_b32_e32 v4, 2, v0                                // 0000000053A8: 20080082
	v_mul_u32_u24_e32 v34, 0x44, v4                            // 0000000053AC: 104408FF 00000044
	v_and_b32_e32 v4, 3, v0                                    // 0000000053B4: 26080083
	v_add_u32_e32 v34, v4, v34                                 // 0000000053B8: 68444504
	s_mul_i32 s31, s24, 4                                      // 0000000053BC: 921F8418
	v_add_u32_e32 v34, s31, v34                                // 0000000053C0: 6844441F
	v_lshlrev_b32_e32 v34, 2, v34                              // 0000000053C4: 24444482
	s_lshr_b32 s31, s55, 2                                     // 0000000053C8: 8F1F8237
	s_and_b32 s32, s55, 3                                      // 0000000053CC: 86208337
	s_cmp_lt_u32 s24, s32                                      // 0000000053D0: BF0A2018
	s_cselect_b32 s32, 1, 0                                    // 0000000053D4: 85208081
	s_add_u32 s55, s31, s32                                    // 0000000053D8: 8037201F
	s_mov_b32 s33, 0                                           // 0000000053DC: BEA10080
	s_waitcnt vmcnt(0) expcnt(0) lgkmcnt(0)                    // 0000000053E0: BF8C0000
	s_barrier                                                  // 0000000053E4: BF8A0000
	ds_write_b128 v25, v[36:39]                                // 0000000053E8: D9BE0000 00002419
	ds_write_b128 v25, v[40:43] offset:4352                    // 0000000053F0: D9BE1100 00002819
	ds_write_b128 v25, v[44:47] offset:8704                    // 0000000053F8: D9BE2200 00002C19
	ds_write_b128 v25, v[48:51] offset:13056                   // 000000005400: D9BE3300 00003019
	s_waitcnt lgkmcnt(0)                                       // 000000005408: BF8CC07F
	s_barrier                                                  // 00000000540C: BF8A0000
	ds_read_b32 v36, v34                                       // 000000005410: D86C0000 24000022
	ds_read_b32 v37, v34 offset:64                             // 000000005418: D86C0040 25000022
	ds_read_b32 v38, v34 offset:128                            // 000000005420: D86C0080 26000022
	ds_read_b32 v39, v34 offset:192                            // 000000005428: D86C00C0 27000022
	ds_read_b32 v40, v34 offset:4352                           // 000000005430: D86C1100 28000022
	ds_read_b32 v41, v34 offset:4416                           // 000000005438: D86C1140 29000022
	ds_read_b32 v42, v34 offset:4480                           // 000000005440: D86C1180 2A000022
	ds_read_b32 v43, v34 offset:4544                           // 000000005448: D86C11C0 2B000022
	ds_read_b32 v44, v34 offset:8704                           // 000000005450: D86C2200 2C000022
	ds_read_b32 v45, v34 offset:8768                           // 000000005458: D86C2240 2D000022
	ds_read_b32 v46, v34 offset:8832                           // 000000005460: D86C2280 2E000022
	ds_read_b32 v47, v34 offset:8896                           // 000000005468: D86C22C0 2F000022
	ds_read_b32 v48, v34 offset:13056                          // 000000005470: D86C3300 30000022
	ds_read_b32 v49, v34 offset:13120                          // 000000005478: D86C3340 31000022
	ds_read_b32 v50, v34 offset:13184                          // 000000005480: D86C3380 32000022
	ds_read_b32 v51, v34 offset:13248                          // 000000005488: D86C33C0 33000022
	s_waitcnt lgkmcnt(0)                                       // 000000005490: BF8CC07F
	s_cmp_eq_u32 s24, 0                                        // 000000005494: BF068018
	s_cbranch_scc0 label_0AAD                                  // 000000005498: BF840006
	s_mov_b32 s31, 0                                           // 00000000549C: BE9F0080

00000000000054a0 <label_0AA8>:
	s_load_dword s32, s[40:41], s62 glc                        // 0000000054A0: C0010814 0000003E
	s_waitcnt lgkmcnt(0)                                       // 0000000054A8: BF8CC07F
	s_cmp_gt_u32 s32, s31                                      // 0000000054AC: BF081F20
	s_cbranch_scc0 label_0AA8                                  // 0000000054B0: BF84FFFB

00000000000054b4 <label_0AAD>:
	s_barrier                                                  // 0000000054B4: BF8A0000
	s_mul_i32 s31, s30, 4                                      // 0000000054B8: 921F841E
	v_mov_b32_e32 v4, v16                                      // 0000000054BC: 7E080310
	s_cmp_lt_i32 s33, s55                                      // 0000000054C0: BF043721
	s_cbranch_scc0 label_0B20                                  // 0000000054C4: BF84006E
	global_atomic_add_f32 v4, v36, s[16:17]                    // 0000000054C8: DD348000 00102404
	v_add_u32_e64 v4, v4, s31                                  // 0000000054D0: D1340004 00003F04
	s_addk_i32 s33, 0x1                                        // 0000000054D8: B7210001
	s_cmp_lt_i32 s33, s55                                      // 0000000054DC: BF043721
	s_cbranch_scc0 label_0B20                                  // 0000000054E0: BF840067
	global_atomic_add_f32 v4, v37, s[16:17]                    // 0000000054E4: DD348000 00102504
	v_add_u32_e64 v4, v4, s31                                  // 0000000054EC: D1340004 00003F04
	s_addk_i32 s33, 0x1                                        // 0000000054F4: B7210001
	s_cmp_lt_i32 s33, s55                                      // 0000000054F8: BF043721
	s_cbranch_scc0 label_0B20                                  // 0000000054FC: BF840060
	global_atomic_add_f32 v4, v38, s[16:17]                    // 000000005500: DD348000 00102604
	v_add_u32_e64 v4, v4, s31                                  // 000000005508: D1340004 00003F04
	s_addk_i32 s33, 0x1                                        // 000000005510: B7210001
	s_cmp_lt_i32 s33, s55                                      // 000000005514: BF043721
	s_cbranch_scc0 label_0B20                                  // 000000005518: BF840059
	global_atomic_add_f32 v4, v39, s[16:17]                    // 00000000551C: DD348000 00102704
	v_add_u32_e64 v4, v4, s31                                  // 000000005524: D1340004 00003F04
	s_addk_i32 s33, 0x1                                        // 00000000552C: B7210001
	s_cmp_lt_i32 s33, s55                                      // 000000005530: BF043721
	s_cbranch_scc0 label_0B20                                  // 000000005534: BF840052
	global_atomic_add_f32 v4, v40, s[16:17]                    // 000000005538: DD348000 00102804
	v_add_u32_e64 v4, v4, s31                                  // 000000005540: D1340004 00003F04
	s_addk_i32 s33, 0x1                                        // 000000005548: B7210001
	s_cmp_lt_i32 s33, s55                                      // 00000000554C: BF043721
	s_cbranch_scc0 label_0B20                                  // 000000005550: BF84004B
	global_atomic_add_f32 v4, v41, s[16:17]                    // 000000005554: DD348000 00102904
	v_add_u32_e64 v4, v4, s31                                  // 00000000555C: D1340004 00003F04
	s_addk_i32 s33, 0x1                                        // 000000005564: B7210001
	s_cmp_lt_i32 s33, s55                                      // 000000005568: BF043721
	s_cbranch_scc0 label_0B20                                  // 00000000556C: BF840044
	global_atomic_add_f32 v4, v42, s[16:17]                    // 000000005570: DD348000 00102A04
	v_add_u32_e64 v4, v4, s31                                  // 000000005578: D1340004 00003F04
	s_addk_i32 s33, 0x1                                        // 000000005580: B7210001
	s_cmp_lt_i32 s33, s55                                      // 000000005584: BF043721
	s_cbranch_scc0 label_0B20                                  // 000000005588: BF84003D
	global_atomic_add_f32 v4, v43, s[16:17]                    // 00000000558C: DD348000 00102B04
	v_add_u32_e64 v4, v4, s31                                  // 000000005594: D1340004 00003F04
	s_addk_i32 s33, 0x1                                        // 00000000559C: B7210001
	s_cmp_lt_i32 s33, s55                                      // 0000000055A0: BF043721
	s_cbranch_scc0 label_0B20                                  // 0000000055A4: BF840036
	global_atomic_add_f32 v4, v44, s[16:17]                    // 0000000055A8: DD348000 00102C04
	v_add_u32_e64 v4, v4, s31                                  // 0000000055B0: D1340004 00003F04
	s_addk_i32 s33, 0x1                                        // 0000000055B8: B7210001
	s_cmp_lt_i32 s33, s55                                      // 0000000055BC: BF043721
	s_cbranch_scc0 label_0B20                                  // 0000000055C0: BF84002F
	global_atomic_add_f32 v4, v45, s[16:17]                    // 0000000055C4: DD348000 00102D04
	v_add_u32_e64 v4, v4, s31                                  // 0000000055CC: D1340004 00003F04
	s_addk_i32 s33, 0x1                                        // 0000000055D4: B7210001
	s_cmp_lt_i32 s33, s55                                      // 0000000055D8: BF043721
	s_cbranch_scc0 label_0B20                                  // 0000000055DC: BF840028
	global_atomic_add_f32 v4, v46, s[16:17]                    // 0000000055E0: DD348000 00102E04
	v_add_u32_e64 v4, v4, s31                                  // 0000000055E8: D1340004 00003F04
	s_addk_i32 s33, 0x1                                        // 0000000055F0: B7210001
	s_cmp_lt_i32 s33, s55                                      // 0000000055F4: BF043721
	s_cbranch_scc0 label_0B20                                  // 0000000055F8: BF840021
	global_atomic_add_f32 v4, v47, s[16:17]                    // 0000000055FC: DD348000 00102F04
	v_add_u32_e64 v4, v4, s31                                  // 000000005604: D1340004 00003F04
	s_addk_i32 s33, 0x1                                        // 00000000560C: B7210001
	s_cmp_lt_i32 s33, s55                                      // 000000005610: BF043721
	s_cbranch_scc0 label_0B20                                  // 000000005614: BF84001A
	global_atomic_add_f32 v4, v48, s[16:17]                    // 000000005618: DD348000 00103004
	v_add_u32_e64 v4, v4, s31                                  // 000000005620: D1340004 00003F04
	s_addk_i32 s33, 0x1                                        // 000000005628: B7210001
	s_cmp_lt_i32 s33, s55                                      // 00000000562C: BF043721
	s_cbranch_scc0 label_0B20                                  // 000000005630: BF840013
	global_atomic_add_f32 v4, v49, s[16:17]                    // 000000005634: DD348000 00103104
	v_add_u32_e64 v4, v4, s31                                  // 00000000563C: D1340004 00003F04
	s_addk_i32 s33, 0x1                                        // 000000005644: B7210001
	s_cmp_lt_i32 s33, s55                                      // 000000005648: BF043721
	s_cbranch_scc0 label_0B20                                  // 00000000564C: BF84000C
	global_atomic_add_f32 v4, v50, s[16:17]                    // 000000005650: DD348000 00103204
	v_add_u32_e64 v4, v4, s31                                  // 000000005658: D1340004 00003F04
	s_addk_i32 s33, 0x1                                        // 000000005660: B7210001
	s_cmp_lt_i32 s33, s55                                      // 000000005664: BF043721
	s_cbranch_scc0 label_0B20                                  // 000000005668: BF840005
	global_atomic_add_f32 v4, v51, s[16:17]                    // 00000000566C: DD348000 00103304
	v_add_u32_e64 v4, v4, s31                                  // 000000005674: D1340004 00003F04
	s_addk_i32 s33, 0x1                                        // 00000000567C: B7210001

0000000000005680 <label_0B20>:
	s_barrier                                                  // 000000005680: BF8A0000
	s_cmp_eq_u32 s24, 0                                        // 000000005684: BF068018
	s_cbranch_scc0 label_0D0A                                  // 000000005688: BF8401E7
	s_atomic_dec s52, s[40:41], s62                            // 00000000568C: C2300D14 0000003E
	s_branch label_0D0A                                        // 000000005694: BF8201E4

0000000000005698 <label_0B26>:
	v_lshrrev_b32_e32 v4, 4, v0                                // 000000005698: 20080084
	v_mul_u32_u24_e32 v25, 34, v4                              // 00000000569C: 103208A2
	v_and_b32_e32 v4, 15, v0                                   // 0000000056A0: 2608008F
	v_mul_lo_u32 v5, 2, v4                                     // 0000000056A4: D2850005 00020882
	v_add_u32_e32 v25, v5, v25                                 // 0000000056AC: 68323305
	s_mul_i32 s31, s24, 0x88                                   // 0000000056B0: 921FFF18 00000088
	v_add_u32_e32 v25, s31, v25                                // 0000000056B8: 6832321F
	v_lshlrev_b32_e32 v25, 2, v25                              // 0000000056BC: 24323282
	v_and_b32_e32 v4, 31, v0                                   // 0000000056C0: 2608009F
	v_lshrrev_b32_e32 v5, 1, v4                                // 0000000056C4: 200A0881
	v_mul_u32_u24_e32 v34, 34, v5                              // 0000000056C8: 10440AA2
	v_and_b32_e32 v5, 1, v4                                    // 0000000056CC: 260A0881
	v_add_u32_e32 v34, v5, v34                                 // 0000000056D0: 68444505
	v_lshrrev_b32_e32 v4, 5, v0                                // 0000000056D4: 20080085
	v_mul_u32_u24_e32 v4, 8, v4                                // 0000000056D8: 10080888
	v_add_u32_e32 v34, v4, v34                                 // 0000000056DC: 68444504
	s_mul_i32 s31, s24, 2                                      // 0000000056E0: 921F8218
	v_add_u32_e32 v34, s31, v34                                // 0000000056E4: 6844441F
	v_lshlrev_b32_e32 v34, 2, v34                              // 0000000056E8: 24444482
	s_lshr_b32 s31, s55, 2                                     // 0000000056EC: 8F1F8237
	s_and_b32 s32, s55, 3                                      // 0000000056F0: 86208337
	s_cmp_lt_u32 s24, s32                                      // 0000000056F4: BF0A2018
	s_cselect_b32 s32, 1, 0                                    // 0000000056F8: 85208081
	s_add_u32 s55, s31, s32                                    // 0000000056FC: 8037201F
	s_mov_b32 s33, 0                                           // 000000005700: BEA10080
	s_waitcnt vmcnt(0) expcnt(0) lgkmcnt(0)                    // 000000005704: BF8C0000
	s_barrier                                                  // 000000005708: BF8A0000
	v_cmp_u_f32_e64 s[60:61], v36, v36                         // 00000000570C: D048003C 00024924
	v_add3_u32 v8, v36, v11, 1                                 // 000000005714: D1FF0008 02061724
	v_cndmask_b32_e64 v4, v8, v10, s[60:61]                    // 00000000571C: D1000004 00F21508
	v_cmp_u_f32_e64 s[60:61], v37, v37                         // 000000005724: D048003C 00024B25
	v_add3_u32 v8, v37, v11, 1                                 // 00000000572C: D1FF0008 02061725
	v_cndmask_b32_e64 v5, v8, v10, s[60:61]                    // 000000005734: D1000005 00F21508
	v_perm_b32 v52, v5, v4, s35                                // 00000000573C: D1ED0034 008E0905
	v_cmp_u_f32_e64 s[60:61], v38, v38                         // 000000005744: D048003C 00024D26
	v_add3_u32 v8, v38, v11, 1                                 // 00000000574C: D1FF0008 02061726
	v_cndmask_b32_e64 v4, v8, v10, s[60:61]                    // 000000005754: D1000004 00F21508
	v_cmp_u_f32_e64 s[60:61], v39, v39                         // 00000000575C: D048003C 00024F27
	v_add3_u32 v8, v39, v11, 1                                 // 000000005764: D1FF0008 02061727
	v_cndmask_b32_e64 v5, v8, v10, s[60:61]                    // 00000000576C: D1000005 00F21508
	v_perm_b32 v53, v5, v4, s35                                // 000000005774: D1ED0035 008E0905
	v_cmp_u_f32_e64 s[60:61], v40, v40                         // 00000000577C: D048003C 00025128
	v_add3_u32 v8, v40, v11, 1                                 // 000000005784: D1FF0008 02061728
	v_cndmask_b32_e64 v4, v8, v10, s[60:61]                    // 00000000578C: D1000004 00F21508
	v_cmp_u_f32_e64 s[60:61], v41, v41                         // 000000005794: D048003C 00025329
	v_add3_u32 v8, v41, v11, 1                                 // 00000000579C: D1FF0008 02061729
	v_cndmask_b32_e64 v5, v8, v10, s[60:61]                    // 0000000057A4: D1000005 00F21508
	v_perm_b32 v54, v5, v4, s35                                // 0000000057AC: D1ED0036 008E0905
	v_cmp_u_f32_e64 s[60:61], v42, v42                         // 0000000057B4: D048003C 0002552A
	v_add3_u32 v8, v42, v11, 1                                 // 0000000057BC: D1FF0008 0206172A
	v_cndmask_b32_e64 v4, v8, v10, s[60:61]                    // 0000000057C4: D1000004 00F21508
	v_cmp_u_f32_e64 s[60:61], v43, v43                         // 0000000057CC: D048003C 0002572B
	v_add3_u32 v8, v43, v11, 1                                 // 0000000057D4: D1FF0008 0206172B
	v_cndmask_b32_e64 v5, v8, v10, s[60:61]                    // 0000000057DC: D1000005 00F21508
	v_perm_b32 v55, v5, v4, s35                                // 0000000057E4: D1ED0037 008E0905
	v_cmp_u_f32_e64 s[60:61], v44, v44                         // 0000000057EC: D048003C 0002592C
	v_add3_u32 v8, v44, v11, 1                                 // 0000000057F4: D1FF0008 0206172C
	v_cndmask_b32_e64 v4, v8, v10, s[60:61]                    // 0000000057FC: D1000004 00F21508
	v_cmp_u_f32_e64 s[60:61], v45, v45                         // 000000005804: D048003C 00025B2D
	v_add3_u32 v8, v45, v11, 1                                 // 00000000580C: D1FF0008 0206172D
	v_cndmask_b32_e64 v5, v8, v10, s[60:61]                    // 000000005814: D1000005 00F21508
	v_perm_b32 v56, v5, v4, s35                                // 00000000581C: D1ED0038 008E0905
	v_cmp_u_f32_e64 s[60:61], v46, v46                         // 000000005824: D048003C 00025D2E
	v_add3_u32 v8, v46, v11, 1                                 // 00000000582C: D1FF0008 0206172E
	v_cndmask_b32_e64 v4, v8, v10, s[60:61]                    // 000000005834: D1000004 00F21508
	v_cmp_u_f32_e64 s[60:61], v47, v47                         // 00000000583C: D048003C 00025F2F
	v_add3_u32 v8, v47, v11, 1                                 // 000000005844: D1FF0008 0206172F
	v_cndmask_b32_e64 v5, v8, v10, s[60:61]                    // 00000000584C: D1000005 00F21508
	v_perm_b32 v57, v5, v4, s35                                // 000000005854: D1ED0039 008E0905
	v_cmp_u_f32_e64 s[60:61], v48, v48                         // 00000000585C: D048003C 00026130
	v_add3_u32 v8, v48, v11, 1                                 // 000000005864: D1FF0008 02061730
	v_cndmask_b32_e64 v4, v8, v10, s[60:61]                    // 00000000586C: D1000004 00F21508
	v_cmp_u_f32_e64 s[60:61], v49, v49                         // 000000005874: D048003C 00026331
	v_add3_u32 v8, v49, v11, 1                                 // 00000000587C: D1FF0008 02061731
	v_cndmask_b32_e64 v5, v8, v10, s[60:61]                    // 000000005884: D1000005 00F21508
	v_perm_b32 v58, v5, v4, s35                                // 00000000588C: D1ED003A 008E0905
	v_cmp_u_f32_e64 s[60:61], v50, v50                         // 000000005894: D048003C 00026532
	v_add3_u32 v8, v50, v11, 1                                 // 00000000589C: D1FF0008 02061732
	v_cndmask_b32_e64 v4, v8, v10, s[60:61]                    // 0000000058A4: D1000004 00F21508
	v_cmp_u_f32_e64 s[60:61], v51, v51                         // 0000000058AC: D048003C 00026733
	v_add3_u32 v8, v51, v11, 1                                 // 0000000058B4: D1FF0008 02061733
	v_cndmask_b32_e64 v5, v8, v10, s[60:61]                    // 0000000058BC: D1000005 00F21508
	v_perm_b32 v59, v5, v4, s35                                // 0000000058C4: D1ED003B 008E0905
	ds_write_b64 v25, v[52:53]                                 // 0000000058CC: D89A0000 00003419
	ds_write_b64 v25, v[54:55] offset:2176                     // 0000000058D4: D89A0880 00003619
	ds_write_b64 v25, v[56:57] offset:4352                     // 0000000058DC: D89A1100 00003819
	ds_write_b64 v25, v[58:59] offset:6528                     // 0000000058E4: D89A1980 00003A19
	s_waitcnt lgkmcnt(0)                                       // 0000000058EC: BF8CC07F
	s_barrier                                                  // 0000000058F0: BF8A0000
	ds_read_b32 v52, v34                                       // 0000000058F4: D86C0000 34000022
	ds_read_b32 v53, v34 offset:64                             // 0000000058FC: D86C0040 35000022
	ds_read_b32 v54, v34 offset:2176                           // 000000005904: D86C0880 36000022
	ds_read_b32 v55, v34 offset:2240                           // 00000000590C: D86C08C0 37000022
	ds_read_b32 v56, v34 offset:4352                           // 000000005914: D86C1100 38000022
	ds_read_b32 v57, v34 offset:4416                           // 00000000591C: D86C1140 39000022
	ds_read_b32 v58, v34 offset:6528                           // 000000005924: D86C1980 3A000022
	ds_read_b32 v59, v34 offset:6592                           // 00000000592C: D86C19C0 3B000022
	s_waitcnt lgkmcnt(0)                                       // 000000005934: BF8CC07F
	s_cmp_eq_u32 s24, 0                                        // 000000005938: BF068018
	s_cbranch_scc0 label_0BD6                                  // 00000000593C: BF840006
	s_mov_b32 s31, 0                                           // 000000005940: BE9F0080

0000000000005944 <label_0BD1>:
	s_load_dword s32, s[40:41], s62 glc                        // 000000005944: C0010814 0000003E
	s_waitcnt lgkmcnt(0)                                       // 00000000594C: BF8CC07F
	s_cmp_gt_u32 s32, s31                                      // 000000005950: BF081F20
	s_cbranch_scc0 label_0BD1                                  // 000000005954: BF84FFFB

0000000000005958 <label_0BD6>:
	s_barrier                                                  // 000000005958: BF8A0000
	s_mul_i32 s31, s30, 8                                      // 00000000595C: 921F881E
	v_mov_b32_e32 v4, v16                                      // 000000005960: 7E080310
	s_cmp_lt_i32 s33, s55                                      // 000000005964: BF043721
	s_cbranch_scc0 label_0C81                                  // 000000005968: BF8400A6
	s_mov_b32 s58, -1                                          // 00000000596C: BEBA00C1
	s_mov_b32 s59, 0                                           // 000000005970: BEBB0080
	s_mov_b64 exec, s[58:59]                                   // 000000005974: BEFE013A
	global_atomic_pk_add_bf16 v4, v52, s[16:17]                // 000000005978: DD488000 00103404
	s_addk_i32 s33, 0x1                                        // 000000005980: B7210001
	s_cmp_lt_i32 s33, s55                                      // 000000005984: BF043721
	s_cbranch_scc0 label_0C81                                  // 000000005988: BF84009E
	s_mov_b32 s58, 0                                           // 00000000598C: BEBA0080
	s_mov_b32 s59, -1                                          // 000000005990: BEBB00C1
	s_mov_b64 exec, s[58:59]                                   // 000000005994: BEFE013A
	global_atomic_pk_add_bf16 v4, v52, s[16:17]                // 000000005998: DD488000 00103404
	s_addk_i32 s33, 0x1                                        // 0000000059A0: B7210001
	s_mov_b32 s58, -1                                          // 0000000059A4: BEBA00C1
	s_mov_b32 s59, -1                                          // 0000000059A8: BEBB00C1
	s_mov_b64 exec, s[58:59]                                   // 0000000059AC: BEFE013A
	v_add_u32_e64 v4, v4, s31                                  // 0000000059B0: D1340004 00003F04
	s_cmp_lt_i32 s33, s55                                      // 0000000059B8: BF043721
	s_cbranch_scc0 label_0C81                                  // 0000000059BC: BF840091
	s_mov_b32 s58, -1                                          // 0000000059C0: BEBA00C1
	s_mov_b32 s59, 0                                           // 0000000059C4: BEBB0080
	s_mov_b64 exec, s[58:59]                                   // 0000000059C8: BEFE013A
	global_atomic_pk_add_bf16 v4, v53, s[16:17]                // 0000000059CC: DD488000 00103504
	s_addk_i32 s33, 0x1                                        // 0000000059D4: B7210001
	s_cmp_lt_i32 s33, s55                                      // 0000000059D8: BF043721
	s_cbranch_scc0 label_0C81                                  // 0000000059DC: BF840089
	s_mov_b32 s58, 0                                           // 0000000059E0: BEBA0080
	s_mov_b32 s59, -1                                          // 0000000059E4: BEBB00C1
	s_mov_b64 exec, s[58:59]                                   // 0000000059E8: BEFE013A
	global_atomic_pk_add_bf16 v4, v53, s[16:17]                // 0000000059EC: DD488000 00103504
	s_addk_i32 s33, 0x1                                        // 0000000059F4: B7210001
	s_mov_b32 s58, -1                                          // 0000000059F8: BEBA00C1
	s_mov_b32 s59, -1                                          // 0000000059FC: BEBB00C1
	s_mov_b64 exec, s[58:59]                                   // 000000005A00: BEFE013A
	v_add_u32_e64 v4, v4, s31                                  // 000000005A04: D1340004 00003F04
	s_cmp_lt_i32 s33, s55                                      // 000000005A0C: BF043721
	s_cbranch_scc0 label_0C81                                  // 000000005A10: BF84007C
	s_mov_b32 s58, -1                                          // 000000005A14: BEBA00C1
	s_mov_b32 s59, 0                                           // 000000005A18: BEBB0080
	s_mov_b64 exec, s[58:59]                                   // 000000005A1C: BEFE013A
	global_atomic_pk_add_bf16 v4, v54, s[16:17]                // 000000005A20: DD488000 00103604
	s_addk_i32 s33, 0x1                                        // 000000005A28: B7210001
	s_cmp_lt_i32 s33, s55                                      // 000000005A2C: BF043721
	s_cbranch_scc0 label_0C81                                  // 000000005A30: BF840074
	s_mov_b32 s58, 0                                           // 000000005A34: BEBA0080
	s_mov_b32 s59, -1                                          // 000000005A38: BEBB00C1
	s_mov_b64 exec, s[58:59]                                   // 000000005A3C: BEFE013A
	global_atomic_pk_add_bf16 v4, v54, s[16:17]                // 000000005A40: DD488000 00103604
	s_addk_i32 s33, 0x1                                        // 000000005A48: B7210001
	s_mov_b32 s58, -1                                          // 000000005A4C: BEBA00C1
	s_mov_b32 s59, -1                                          // 000000005A50: BEBB00C1
	s_mov_b64 exec, s[58:59]                                   // 000000005A54: BEFE013A
	v_add_u32_e64 v4, v4, s31                                  // 000000005A58: D1340004 00003F04
	s_cmp_lt_i32 s33, s55                                      // 000000005A60: BF043721
	s_cbranch_scc0 label_0C81                                  // 000000005A64: BF840067
	s_mov_b32 s58, -1                                          // 000000005A68: BEBA00C1
	s_mov_b32 s59, 0                                           // 000000005A6C: BEBB0080
	s_mov_b64 exec, s[58:59]                                   // 000000005A70: BEFE013A
	global_atomic_pk_add_bf16 v4, v55, s[16:17]                // 000000005A74: DD488000 00103704
	s_addk_i32 s33, 0x1                                        // 000000005A7C: B7210001
	s_cmp_lt_i32 s33, s55                                      // 000000005A80: BF043721
	s_cbranch_scc0 label_0C81                                  // 000000005A84: BF84005F
	s_mov_b32 s58, 0                                           // 000000005A88: BEBA0080
	s_mov_b32 s59, -1                                          // 000000005A8C: BEBB00C1
	s_mov_b64 exec, s[58:59]                                   // 000000005A90: BEFE013A
	global_atomic_pk_add_bf16 v4, v55, s[16:17]                // 000000005A94: DD488000 00103704
	s_addk_i32 s33, 0x1                                        // 000000005A9C: B7210001
	s_mov_b32 s58, -1                                          // 000000005AA0: BEBA00C1
	s_mov_b32 s59, -1                                          // 000000005AA4: BEBB00C1
	s_mov_b64 exec, s[58:59]                                   // 000000005AA8: BEFE013A
	v_add_u32_e64 v4, v4, s31                                  // 000000005AAC: D1340004 00003F04
	s_cmp_lt_i32 s33, s55                                      // 000000005AB4: BF043721
	s_cbranch_scc0 label_0C81                                  // 000000005AB8: BF840052
	s_mov_b32 s58, -1                                          // 000000005ABC: BEBA00C1
	s_mov_b32 s59, 0                                           // 000000005AC0: BEBB0080
	s_mov_b64 exec, s[58:59]                                   // 000000005AC4: BEFE013A
	global_atomic_pk_add_bf16 v4, v56, s[16:17]                // 000000005AC8: DD488000 00103804
	s_addk_i32 s33, 0x1                                        // 000000005AD0: B7210001
	s_cmp_lt_i32 s33, s55                                      // 000000005AD4: BF043721
	s_cbranch_scc0 label_0C81                                  // 000000005AD8: BF84004A
	s_mov_b32 s58, 0                                           // 000000005ADC: BEBA0080
	s_mov_b32 s59, -1                                          // 000000005AE0: BEBB00C1
	s_mov_b64 exec, s[58:59]                                   // 000000005AE4: BEFE013A
	global_atomic_pk_add_bf16 v4, v56, s[16:17]                // 000000005AE8: DD488000 00103804
	s_addk_i32 s33, 0x1                                        // 000000005AF0: B7210001
	s_mov_b32 s58, -1                                          // 000000005AF4: BEBA00C1
	s_mov_b32 s59, -1                                          // 000000005AF8: BEBB00C1
	s_mov_b64 exec, s[58:59]                                   // 000000005AFC: BEFE013A
	v_add_u32_e64 v4, v4, s31                                  // 000000005B00: D1340004 00003F04
	s_cmp_lt_i32 s33, s55                                      // 000000005B08: BF043721
	s_cbranch_scc0 label_0C81                                  // 000000005B0C: BF84003D
	s_mov_b32 s58, -1                                          // 000000005B10: BEBA00C1
	s_mov_b32 s59, 0                                           // 000000005B14: BEBB0080
	s_mov_b64 exec, s[58:59]                                   // 000000005B18: BEFE013A
	global_atomic_pk_add_bf16 v4, v57, s[16:17]                // 000000005B1C: DD488000 00103904
	s_addk_i32 s33, 0x1                                        // 000000005B24: B7210001
	s_cmp_lt_i32 s33, s55                                      // 000000005B28: BF043721
	s_cbranch_scc0 label_0C81                                  // 000000005B2C: BF840035
	s_mov_b32 s58, 0                                           // 000000005B30: BEBA0080
	s_mov_b32 s59, -1                                          // 000000005B34: BEBB00C1
	s_mov_b64 exec, s[58:59]                                   // 000000005B38: BEFE013A
	global_atomic_pk_add_bf16 v4, v57, s[16:17]                // 000000005B3C: DD488000 00103904
	s_addk_i32 s33, 0x1                                        // 000000005B44: B7210001
	s_mov_b32 s58, -1                                          // 000000005B48: BEBA00C1
	s_mov_b32 s59, -1                                          // 000000005B4C: BEBB00C1
	s_mov_b64 exec, s[58:59]                                   // 000000005B50: BEFE013A
	v_add_u32_e64 v4, v4, s31                                  // 000000005B54: D1340004 00003F04
	s_cmp_lt_i32 s33, s55                                      // 000000005B5C: BF043721
	s_cbranch_scc0 label_0C81                                  // 000000005B60: BF840028
	s_mov_b32 s58, -1                                          // 000000005B64: BEBA00C1
	s_mov_b32 s59, 0                                           // 000000005B68: BEBB0080
	s_mov_b64 exec, s[58:59]                                   // 000000005B6C: BEFE013A
	global_atomic_pk_add_bf16 v4, v58, s[16:17]                // 000000005B70: DD488000 00103A04
	s_addk_i32 s33, 0x1                                        // 000000005B78: B7210001
	s_cmp_lt_i32 s33, s55                                      // 000000005B7C: BF043721
	s_cbranch_scc0 label_0C81                                  // 000000005B80: BF840020
	s_mov_b32 s58, 0                                           // 000000005B84: BEBA0080
	s_mov_b32 s59, -1                                          // 000000005B88: BEBB00C1
	s_mov_b64 exec, s[58:59]                                   // 000000005B8C: BEFE013A
	global_atomic_pk_add_bf16 v4, v58, s[16:17]                // 000000005B90: DD488000 00103A04
	s_addk_i32 s33, 0x1                                        // 000000005B98: B7210001
	s_mov_b32 s58, -1                                          // 000000005B9C: BEBA00C1
	s_mov_b32 s59, -1                                          // 000000005BA0: BEBB00C1
	s_mov_b64 exec, s[58:59]                                   // 000000005BA4: BEFE013A
	v_add_u32_e64 v4, v4, s31                                  // 000000005BA8: D1340004 00003F04
	s_cmp_lt_i32 s33, s55                                      // 000000005BB0: BF043721
	s_cbranch_scc0 label_0C81                                  // 000000005BB4: BF840013
	s_mov_b32 s58, -1                                          // 000000005BB8: BEBA00C1
	s_mov_b32 s59, 0                                           // 000000005BBC: BEBB0080
	s_mov_b64 exec, s[58:59]                                   // 000000005BC0: BEFE013A
	global_atomic_pk_add_bf16 v4, v59, s[16:17]                // 000000005BC4: DD488000 00103B04
	s_addk_i32 s33, 0x1                                        // 000000005BCC: B7210001
	s_cmp_lt_i32 s33, s55                                      // 000000005BD0: BF043721
	s_cbranch_scc0 label_0C81                                  // 000000005BD4: BF84000B
	s_mov_b32 s58, 0                                           // 000000005BD8: BEBA0080
	s_mov_b32 s59, -1                                          // 000000005BDC: BEBB00C1
	s_mov_b64 exec, s[58:59]                                   // 000000005BE0: BEFE013A
	global_atomic_pk_add_bf16 v4, v59, s[16:17]                // 000000005BE4: DD488000 00103B04
	s_addk_i32 s33, 0x1                                        // 000000005BEC: B7210001
	s_mov_b32 s58, -1                                          // 000000005BF0: BEBA00C1
	s_mov_b32 s59, -1                                          // 000000005BF4: BEBB00C1
	s_mov_b64 exec, s[58:59]                                   // 000000005BF8: BEFE013A
	v_add_u32_e64 v4, v4, s31                                  // 000000005BFC: D1340004 00003F04

0000000000005c04 <label_0C81>:
	s_barrier                                                  // 000000005C04: BF8A0000
	s_cmp_eq_u32 s24, 0                                        // 000000005C08: BF068018
	s_cbranch_scc0 label_0D0A                                  // 000000005C0C: BF840086
	s_atomic_dec s52, s[40:41], s62                            // 000000005C10: C2300D14 0000003E
	s_branch label_0D0A                                        // 000000005C18: BF820083

0000000000005c1c <label_0C87>:
	s_cmp_lt_u32 s54, 1                                        // 000000005C1C: BF0A8136
	s_cbranch_scc0 label_0C92                                  // 000000005C20: BF840009
	buffer_store_dwordx4 v[36:39], v12, s[16:19], 0 offen      // 000000005C24: E07C1000 8004240C
	buffer_store_dwordx4 v[40:43], v13, s[16:19], 0 offen      // 000000005C2C: E07C1000 8004280D
	buffer_store_dwordx4 v[44:47], v14, s[16:19], 0 offen      // 000000005C34: E07C1000 80042C0E
	buffer_store_dwordx4 v[48:51], v15, s[16:19], 0 offen      // 000000005C3C: E07C1000 8004300F
	s_branch label_0D0A                                        // 000000005C44: BF820078

0000000000005c48 <label_0C92>:
	v_cmp_u_f32_e64 s[60:61], v36, v36                         // 000000005C48: D048003C 00024924
	v_add3_u32 v8, v36, v11, 1                                 // 000000005C50: D1FF0008 02061724
	v_cndmask_b32_e64 v4, v8, v10, s[60:61]                    // 000000005C58: D1000004 00F21508
	v_cmp_u_f32_e64 s[60:61], v37, v37                         // 000000005C60: D048003C 00024B25
	v_add3_u32 v8, v37, v11, 1                                 // 000000005C68: D1FF0008 02061725
	v_cndmask_b32_e64 v5, v8, v10, s[60:61]                    // 000000005C70: D1000005 00F21508
	v_perm_b32 v52, v5, v4, s35                                // 000000005C78: D1ED0034 008E0905
	v_cmp_u_f32_e64 s[60:61], v38, v38                         // 000000005C80: D048003C 00024D26
	v_add3_u32 v8, v38, v11, 1                                 // 000000005C88: D1FF0008 02061726
	v_cndmask_b32_e64 v4, v8, v10, s[60:61]                    // 000000005C90: D1000004 00F21508
	v_cmp_u_f32_e64 s[60:61], v39, v39                         // 000000005C98: D048003C 00024F27
	v_add3_u32 v8, v39, v11, 1                                 // 000000005CA0: D1FF0008 02061727
	v_cndmask_b32_e64 v5, v8, v10, s[60:61]                    // 000000005CA8: D1000005 00F21508
	v_perm_b32 v53, v5, v4, s35                                // 000000005CB0: D1ED0035 008E0905
	buffer_store_dwordx2 v[52:53], v12, s[16:19], 0 offen      // 000000005CB8: E0741000 8004340C
	v_cmp_u_f32_e64 s[60:61], v40, v40                         // 000000005CC0: D048003C 00025128
	v_add3_u32 v8, v40, v11, 1                                 // 000000005CC8: D1FF0008 02061728
	v_cndmask_b32_e64 v4, v8, v10, s[60:61]                    // 000000005CD0: D1000004 00F21508
	v_cmp_u_f32_e64 s[60:61], v41, v41                         // 000000005CD8: D048003C 00025329
	v_add3_u32 v8, v41, v11, 1                                 // 000000005CE0: D1FF0008 02061729
	v_cndmask_b32_e64 v5, v8, v10, s[60:61]                    // 000000005CE8: D1000005 00F21508
	v_perm_b32 v54, v5, v4, s35                                // 000000005CF0: D1ED0036 008E0905
	v_cmp_u_f32_e64 s[60:61], v42, v42                         // 000000005CF8: D048003C 0002552A
	v_add3_u32 v8, v42, v11, 1                                 // 000000005D00: D1FF0008 0206172A
	v_cndmask_b32_e64 v4, v8, v10, s[60:61]                    // 000000005D08: D1000004 00F21508
	v_cmp_u_f32_e64 s[60:61], v43, v43                         // 000000005D10: D048003C 0002572B
	v_add3_u32 v8, v43, v11, 1                                 // 000000005D18: D1FF0008 0206172B
	v_cndmask_b32_e64 v5, v8, v10, s[60:61]                    // 000000005D20: D1000005 00F21508
	v_perm_b32 v55, v5, v4, s35                                // 000000005D28: D1ED0037 008E0905
	buffer_store_dwordx2 v[54:55], v13, s[16:19], 0 offen      // 000000005D30: E0741000 8004360D
	v_cmp_u_f32_e64 s[60:61], v44, v44                         // 000000005D38: D048003C 0002592C
	v_add3_u32 v8, v44, v11, 1                                 // 000000005D40: D1FF0008 0206172C
	v_cndmask_b32_e64 v4, v8, v10, s[60:61]                    // 000000005D48: D1000004 00F21508
	v_cmp_u_f32_e64 s[60:61], v45, v45                         // 000000005D50: D048003C 00025B2D
	v_add3_u32 v8, v45, v11, 1                                 // 000000005D58: D1FF0008 0206172D
	v_cndmask_b32_e64 v5, v8, v10, s[60:61]                    // 000000005D60: D1000005 00F21508
	v_perm_b32 v56, v5, v4, s35                                // 000000005D68: D1ED0038 008E0905
	v_cmp_u_f32_e64 s[60:61], v46, v46                         // 000000005D70: D048003C 00025D2E
	v_add3_u32 v8, v46, v11, 1                                 // 000000005D78: D1FF0008 0206172E
	v_cndmask_b32_e64 v4, v8, v10, s[60:61]                    // 000000005D80: D1000004 00F21508
	v_cmp_u_f32_e64 s[60:61], v47, v47                         // 000000005D88: D048003C 00025F2F
	v_add3_u32 v8, v47, v11, 1                                 // 000000005D90: D1FF0008 0206172F
	v_cndmask_b32_e64 v5, v8, v10, s[60:61]                    // 000000005D98: D1000005 00F21508
	v_perm_b32 v57, v5, v4, s35                                // 000000005DA0: D1ED0039 008E0905
	buffer_store_dwordx2 v[56:57], v14, s[16:19], 0 offen      // 000000005DA8: E0741000 8004380E
	v_cmp_u_f32_e64 s[60:61], v48, v48                         // 000000005DB0: D048003C 00026130
	v_add3_u32 v8, v48, v11, 1                                 // 000000005DB8: D1FF0008 02061730
	v_cndmask_b32_e64 v4, v8, v10, s[60:61]                    // 000000005DC0: D1000004 00F21508
	v_cmp_u_f32_e64 s[60:61], v49, v49                         // 000000005DC8: D048003C 00026331
	v_add3_u32 v8, v49, v11, 1                                 // 000000005DD0: D1FF0008 02061731
	v_cndmask_b32_e64 v5, v8, v10, s[60:61]                    // 000000005DD8: D1000005 00F21508
	v_perm_b32 v58, v5, v4, s35                                // 000000005DE0: D1ED003A 008E0905
	v_cmp_u_f32_e64 s[60:61], v50, v50                         // 000000005DE8: D048003C 00026532
	v_add3_u32 v8, v50, v11, 1                                 // 000000005DF0: D1FF0008 02061732
	v_cndmask_b32_e64 v4, v8, v10, s[60:61]                    // 000000005DF8: D1000004 00F21508
	v_cmp_u_f32_e64 s[60:61], v51, v51                         // 000000005E00: D048003C 00026733
	v_add3_u32 v8, v51, v11, 1                                 // 000000005E08: D1FF0008 02061733
	v_cndmask_b32_e64 v5, v8, v10, s[60:61]                    // 000000005E10: D1000005 00F21508
	v_perm_b32 v59, v5, v4, s35                                // 000000005E18: D1ED003B 008E0905
	buffer_store_dwordx2 v[58:59], v15, s[16:19], 0 offen      // 000000005E20: E0741000 80043A0F

0000000000005e28 <label_0D0A>:
	s_waitcnt vmcnt(0) expcnt(0) lgkmcnt(0)                    // 000000005E28: BF8C0000
	s_endpgm                                                   // 000000005E2C: BF810000
